;; amdgpu-corpus repo=ROCm/rocFFT kind=compiled arch=gfx906 opt=O3
	.text
	.amdgcn_target "amdgcn-amd-amdhsa--gfx906"
	.amdhsa_code_object_version 6
	.protected	fft_rtc_back_len1547_factors_17_7_13_wgs_119_tpt_119_halfLds_dp_op_CI_CI_unitstride_sbrr_dirReg ; -- Begin function fft_rtc_back_len1547_factors_17_7_13_wgs_119_tpt_119_halfLds_dp_op_CI_CI_unitstride_sbrr_dirReg
	.globl	fft_rtc_back_len1547_factors_17_7_13_wgs_119_tpt_119_halfLds_dp_op_CI_CI_unitstride_sbrr_dirReg
	.p2align	8
	.type	fft_rtc_back_len1547_factors_17_7_13_wgs_119_tpt_119_halfLds_dp_op_CI_CI_unitstride_sbrr_dirReg,@function
fft_rtc_back_len1547_factors_17_7_13_wgs_119_tpt_119_halfLds_dp_op_CI_CI_unitstride_sbrr_dirReg: ; @fft_rtc_back_len1547_factors_17_7_13_wgs_119_tpt_119_halfLds_dp_op_CI_CI_unitstride_sbrr_dirReg
; %bb.0:
	s_load_dwordx4 s[8:11], s[4:5], 0x58
	s_load_dwordx4 s[12:15], s[4:5], 0x0
	;; [unrolled: 1-line block ×3, first 2 shown]
	v_mul_u32_u24_e32 v1, 0x227, v0
	v_add_u32_sdwa v3, s6, v1 dst_sel:DWORD dst_unused:UNUSED_PAD src0_sel:DWORD src1_sel:WORD_1
	v_mov_b32_e32 v1, 0
	s_waitcnt lgkmcnt(0)
	v_cmp_lt_u64_e64 s[0:1], s[14:15], 2
	v_mov_b32_e32 v68, 0
	v_mov_b32_e32 v4, v1
	s_and_b64 vcc, exec, s[0:1]
	v_mov_b32_e32 v69, 0
	s_cbranch_vccnz .LBB0_8
; %bb.1:
	s_load_dwordx2 s[0:1], s[4:5], 0x10
	s_add_u32 s2, s18, 8
	s_addc_u32 s3, s19, 0
	s_add_u32 s6, s16, 8
	v_mov_b32_e32 v68, 0
	s_addc_u32 s7, s17, 0
	v_mov_b32_e32 v69, 0
	s_waitcnt lgkmcnt(0)
	s_add_u32 s20, s0, 8
	v_mov_b32_e32 v81, v69
	s_addc_u32 s21, s1, 0
	s_mov_b64 s[22:23], 1
	v_mov_b32_e32 v80, v68
.LBB0_2:                                ; =>This Inner Loop Header: Depth=1
	s_load_dwordx2 s[24:25], s[20:21], 0x0
                                        ; implicit-def: $vgpr83_vgpr84
	s_waitcnt lgkmcnt(0)
	v_or_b32_e32 v2, s25, v4
	v_cmp_ne_u64_e32 vcc, 0, v[1:2]
	s_and_saveexec_b64 s[0:1], vcc
	s_xor_b64 s[26:27], exec, s[0:1]
	s_cbranch_execz .LBB0_4
; %bb.3:                                ;   in Loop: Header=BB0_2 Depth=1
	v_cvt_f32_u32_e32 v2, s24
	v_cvt_f32_u32_e32 v5, s25
	s_sub_u32 s0, 0, s24
	s_subb_u32 s1, 0, s25
	v_mac_f32_e32 v2, 0x4f800000, v5
	v_rcp_f32_e32 v2, v2
	v_mul_f32_e32 v2, 0x5f7ffffc, v2
	v_mul_f32_e32 v5, 0x2f800000, v2
	v_trunc_f32_e32 v5, v5
	v_mac_f32_e32 v2, 0xcf800000, v5
	v_cvt_u32_f32_e32 v5, v5
	v_cvt_u32_f32_e32 v2, v2
	v_mul_lo_u32 v6, s0, v5
	v_mul_hi_u32 v7, s0, v2
	v_mul_lo_u32 v9, s1, v2
	v_mul_lo_u32 v8, s0, v2
	v_add_u32_e32 v6, v7, v6
	v_add_u32_e32 v6, v6, v9
	v_mul_hi_u32 v7, v2, v8
	v_mul_lo_u32 v9, v2, v6
	v_mul_hi_u32 v11, v2, v6
	v_mul_hi_u32 v10, v5, v8
	v_mul_lo_u32 v8, v5, v8
	v_mul_hi_u32 v12, v5, v6
	v_add_co_u32_e32 v7, vcc, v7, v9
	v_addc_co_u32_e32 v9, vcc, 0, v11, vcc
	v_mul_lo_u32 v6, v5, v6
	v_add_co_u32_e32 v7, vcc, v7, v8
	v_addc_co_u32_e32 v7, vcc, v9, v10, vcc
	v_addc_co_u32_e32 v8, vcc, 0, v12, vcc
	v_add_co_u32_e32 v6, vcc, v7, v6
	v_addc_co_u32_e32 v7, vcc, 0, v8, vcc
	v_add_co_u32_e32 v2, vcc, v2, v6
	v_addc_co_u32_e32 v5, vcc, v5, v7, vcc
	v_mul_lo_u32 v6, s0, v5
	v_mul_hi_u32 v7, s0, v2
	v_mul_lo_u32 v8, s1, v2
	v_mul_lo_u32 v9, s0, v2
	v_add_u32_e32 v6, v7, v6
	v_add_u32_e32 v6, v6, v8
	v_mul_lo_u32 v10, v2, v6
	v_mul_hi_u32 v11, v2, v9
	v_mul_hi_u32 v12, v2, v6
	v_mul_hi_u32 v8, v5, v9
	v_mul_lo_u32 v9, v5, v9
	v_mul_hi_u32 v7, v5, v6
	v_add_co_u32_e32 v10, vcc, v11, v10
	v_addc_co_u32_e32 v11, vcc, 0, v12, vcc
	v_mul_lo_u32 v6, v5, v6
	v_add_co_u32_e32 v9, vcc, v10, v9
	v_addc_co_u32_e32 v8, vcc, v11, v8, vcc
	v_addc_co_u32_e32 v7, vcc, 0, v7, vcc
	v_add_co_u32_e32 v6, vcc, v8, v6
	v_addc_co_u32_e32 v7, vcc, 0, v7, vcc
	v_add_co_u32_e32 v2, vcc, v2, v6
	v_addc_co_u32_e32 v7, vcc, v5, v7, vcc
	v_mad_u64_u32 v[5:6], s[0:1], v3, v7, 0
	v_mul_hi_u32 v8, v3, v2
	v_add_co_u32_e32 v9, vcc, v8, v5
	v_addc_co_u32_e32 v10, vcc, 0, v6, vcc
	v_mad_u64_u32 v[5:6], s[0:1], v4, v2, 0
	v_mad_u64_u32 v[7:8], s[0:1], v4, v7, 0
	v_add_co_u32_e32 v2, vcc, v9, v5
	v_addc_co_u32_e32 v2, vcc, v10, v6, vcc
	v_addc_co_u32_e32 v5, vcc, 0, v8, vcc
	v_add_co_u32_e32 v2, vcc, v2, v7
	v_addc_co_u32_e32 v7, vcc, 0, v5, vcc
	v_mul_lo_u32 v8, s25, v2
	v_mul_lo_u32 v9, s24, v7
	v_mad_u64_u32 v[5:6], s[0:1], s24, v2, 0
	v_add3_u32 v6, v6, v9, v8
	v_sub_u32_e32 v8, v4, v6
	v_mov_b32_e32 v9, s25
	v_sub_co_u32_e32 v5, vcc, v3, v5
	v_subb_co_u32_e64 v8, s[0:1], v8, v9, vcc
	v_subrev_co_u32_e64 v9, s[0:1], s24, v5
	v_subbrev_co_u32_e64 v8, s[0:1], 0, v8, s[0:1]
	v_cmp_le_u32_e64 s[0:1], s25, v8
	v_cndmask_b32_e64 v10, 0, -1, s[0:1]
	v_cmp_le_u32_e64 s[0:1], s24, v9
	v_cndmask_b32_e64 v9, 0, -1, s[0:1]
	v_cmp_eq_u32_e64 s[0:1], s25, v8
	v_cndmask_b32_e64 v8, v10, v9, s[0:1]
	v_add_co_u32_e64 v9, s[0:1], 2, v2
	v_addc_co_u32_e64 v10, s[0:1], 0, v7, s[0:1]
	v_add_co_u32_e64 v11, s[0:1], 1, v2
	v_addc_co_u32_e64 v12, s[0:1], 0, v7, s[0:1]
	v_subb_co_u32_e32 v6, vcc, v4, v6, vcc
	v_cmp_ne_u32_e64 s[0:1], 0, v8
	v_cmp_le_u32_e32 vcc, s25, v6
	v_cndmask_b32_e64 v8, v12, v10, s[0:1]
	v_cndmask_b32_e64 v10, 0, -1, vcc
	v_cmp_le_u32_e32 vcc, s24, v5
	v_cndmask_b32_e64 v5, 0, -1, vcc
	v_cmp_eq_u32_e32 vcc, s25, v6
	v_cndmask_b32_e32 v5, v10, v5, vcc
	v_cmp_ne_u32_e32 vcc, 0, v5
	v_cndmask_b32_e64 v5, v11, v9, s[0:1]
	v_cndmask_b32_e32 v84, v7, v8, vcc
	v_cndmask_b32_e32 v83, v2, v5, vcc
.LBB0_4:                                ;   in Loop: Header=BB0_2 Depth=1
	s_andn2_saveexec_b64 s[0:1], s[26:27]
	s_cbranch_execz .LBB0_6
; %bb.5:                                ;   in Loop: Header=BB0_2 Depth=1
	v_cvt_f32_u32_e32 v2, s24
	s_sub_i32 s26, 0, s24
	v_mov_b32_e32 v84, v1
	v_rcp_iflag_f32_e32 v2, v2
	v_mul_f32_e32 v2, 0x4f7ffffe, v2
	v_cvt_u32_f32_e32 v2, v2
	v_mul_lo_u32 v5, s26, v2
	v_mul_hi_u32 v5, v2, v5
	v_add_u32_e32 v2, v2, v5
	v_mul_hi_u32 v2, v3, v2
	v_mul_lo_u32 v5, v2, s24
	v_add_u32_e32 v6, 1, v2
	v_sub_u32_e32 v5, v3, v5
	v_subrev_u32_e32 v7, s24, v5
	v_cmp_le_u32_e32 vcc, s24, v5
	v_cndmask_b32_e32 v5, v5, v7, vcc
	v_cndmask_b32_e32 v2, v2, v6, vcc
	v_add_u32_e32 v6, 1, v2
	v_cmp_le_u32_e32 vcc, s24, v5
	v_cndmask_b32_e32 v83, v2, v6, vcc
.LBB0_6:                                ;   in Loop: Header=BB0_2 Depth=1
	s_or_b64 exec, exec, s[0:1]
	v_mul_lo_u32 v2, v84, s24
	v_mul_lo_u32 v7, v83, s25
	v_mad_u64_u32 v[5:6], s[0:1], v83, s24, 0
	s_load_dwordx2 s[0:1], s[6:7], 0x0
	s_load_dwordx2 s[24:25], s[2:3], 0x0
	v_add3_u32 v2, v6, v7, v2
	v_sub_co_u32_e32 v3, vcc, v3, v5
	v_subb_co_u32_e32 v2, vcc, v4, v2, vcc
	s_waitcnt lgkmcnt(0)
	v_mul_lo_u32 v4, s0, v2
	v_mul_lo_u32 v5, s1, v3
	v_mad_u64_u32 v[68:69], s[0:1], s0, v3, v[68:69]
	v_mul_lo_u32 v2, s24, v2
	v_mul_lo_u32 v6, s25, v3
	v_mad_u64_u32 v[80:81], s[0:1], s24, v3, v[80:81]
	s_add_u32 s22, s22, 1
	s_addc_u32 s23, s23, 0
	s_add_u32 s2, s2, 8
	v_add3_u32 v81, v6, v81, v2
	s_addc_u32 s3, s3, 0
	v_mov_b32_e32 v2, s14
	s_add_u32 s6, s6, 8
	v_mov_b32_e32 v3, s15
	s_addc_u32 s7, s7, 0
	v_cmp_ge_u64_e32 vcc, s[22:23], v[2:3]
	s_add_u32 s20, s20, 8
	v_add3_u32 v69, v5, v69, v4
	s_addc_u32 s21, s21, 0
	s_cbranch_vccnz .LBB0_9
; %bb.7:                                ;   in Loop: Header=BB0_2 Depth=1
	v_mov_b32_e32 v3, v83
	v_mov_b32_e32 v4, v84
	s_branch .LBB0_2
.LBB0_8:
	v_mov_b32_e32 v81, v69
	v_mov_b32_e32 v84, v4
	;; [unrolled: 1-line block ×4, first 2 shown]
.LBB0_9:
	s_lshl_b64 s[14:15], s[14:15], 3
	s_load_dwordx2 s[0:1], s[4:5], 0x28
	s_add_u32 s2, s18, s14
	s_mov_b32 s3, 0x226b903
	v_mul_hi_u32 v1, v0, s3
	s_addc_u32 s3, s19, s15
	s_load_dwordx2 s[4:5], s[2:3], 0x0
	s_waitcnt lgkmcnt(0)
	v_cmp_gt_u64_e32 vcc, s[0:1], v[83:84]
	v_mul_u32_u24_e32 v1, 0x77, v1
	v_sub_u32_e32 v85, v0, v1
	v_mov_b32_e32 v82, 0
                                        ; implicit-def: $vgpr14_vgpr15
                                        ; implicit-def: $vgpr10_vgpr11
                                        ; implicit-def: $vgpr18_vgpr19
                                        ; implicit-def: $vgpr26_vgpr27
                                        ; implicit-def: $vgpr30_vgpr31
                                        ; implicit-def: $vgpr42_vgpr43
                                        ; implicit-def: $vgpr50_vgpr51
                                        ; implicit-def: $vgpr54_vgpr55
                                        ; implicit-def: $vgpr58_vgpr59
                                        ; implicit-def: $vgpr62_vgpr63
                                        ; implicit-def: $vgpr66_vgpr67
                                        ; implicit-def: $vgpr6_vgpr7
                                        ; implicit-def: $vgpr38_vgpr39
                                        ; implicit-def: $vgpr34_vgpr35
                                        ; implicit-def: $vgpr46_vgpr47
                                        ; implicit-def: $vgpr22_vgpr23
                                        ; implicit-def: $vgpr2_vgpr3
	s_and_saveexec_b64 s[2:3], vcc
	s_cbranch_execz .LBB0_13
; %bb.10:
	s_movk_i32 s0, 0x5b
	v_cmp_gt_u32_e64 s[0:1], s0, v85
                                        ; implicit-def: $vgpr0_vgpr1
                                        ; implicit-def: $vgpr20_vgpr21
                                        ; implicit-def: $vgpr44_vgpr45
                                        ; implicit-def: $vgpr32_vgpr33
                                        ; implicit-def: $vgpr36_vgpr37
                                        ; implicit-def: $vgpr4_vgpr5
                                        ; implicit-def: $vgpr64_vgpr65
                                        ; implicit-def: $vgpr60_vgpr61
                                        ; implicit-def: $vgpr56_vgpr57
                                        ; implicit-def: $vgpr52_vgpr53
                                        ; implicit-def: $vgpr48_vgpr49
                                        ; implicit-def: $vgpr40_vgpr41
                                        ; implicit-def: $vgpr28_vgpr29
                                        ; implicit-def: $vgpr24_vgpr25
                                        ; implicit-def: $vgpr16_vgpr17
                                        ; implicit-def: $vgpr8_vgpr9
                                        ; implicit-def: $vgpr12_vgpr13
	s_and_saveexec_b64 s[6:7], s[0:1]
	s_cbranch_execz .LBB0_12
; %bb.11:
	s_add_u32 s0, s16, s14
	s_addc_u32 s1, s17, s15
	s_load_dwordx2 s[0:1], s[0:1], 0x0
	v_mov_b32_e32 v4, s9
	v_mov_b32_e32 v86, 0
	s_waitcnt lgkmcnt(0)
	v_mul_lo_u32 v2, s1, v83
	v_mul_lo_u32 v3, s0, v84
	v_mad_u64_u32 v[0:1], s[0:1], s0, v83, 0
	v_add3_u32 v1, v1, v3, v2
	v_lshlrev_b64 v[0:1], 4, v[0:1]
	v_add_co_u32_e64 v2, s[0:1], s8, v0
	v_addc_co_u32_e64 v3, s[0:1], v4, v1, s[0:1]
	v_lshlrev_b64 v[0:1], 4, v[68:69]
	v_add_co_u32_e64 v2, s[0:1], v2, v0
	v_addc_co_u32_e64 v3, s[0:1], v3, v1, s[0:1]
	;; [unrolled: 3-line block ×3, first 2 shown]
	s_movk_i32 s0, 0x1000
	v_add_co_u32_e64 v10, s[0:1], s0, v8
	v_addc_co_u32_e64 v11, s[0:1], 0, v9, s[0:1]
	s_movk_i32 s0, 0x2000
	v_add_co_u32_e64 v68, s[0:1], s0, v8
	v_addc_co_u32_e64 v69, s[0:1], 0, v9, s[0:1]
	;; [unrolled: 3-line block ×4, first 2 shown]
	s_movk_i32 s0, 0x5000
	v_add_co_u32_e64 v74, s[0:1], s0, v8
	global_load_dwordx4 v[0:3], v[8:9], off
	global_load_dwordx4 v[20:23], v[8:9], off offset:1456
	global_load_dwordx4 v[44:47], v[8:9], off offset:2912
	;; [unrolled: 1-line block ×5, first 2 shown]
	v_addc_co_u32_e64 v75, s[0:1], 0, v9, s[0:1]
	global_load_dwordx4 v[64:67], v[68:69], off offset:544
	global_load_dwordx4 v[60:63], v[68:69], off offset:2000
	;; [unrolled: 1-line block ×11, first 2 shown]
.LBB0_12:
	s_or_b64 exec, exec, s[6:7]
	v_mov_b32_e32 v82, v85
.LBB0_13:
	s_or_b64 exec, exec, s[2:3]
	s_waitcnt vmcnt(0)
	v_add_f64 v[68:69], v[22:23], -v[14:15]
	s_mov_b32 s0, 0xeb564b22
	s_mov_b32 s1, 0xbfefdd0d
	v_add_f64 v[70:71], v[12:13], v[20:21]
	v_add_f64 v[72:73], v[46:47], -v[10:11]
	s_mov_b32 s22, 0x3259b75e
	s_mov_b32 s6, 0xacd6c6b4
	;; [unrolled: 1-line block ×3, first 2 shown]
	v_mul_f64 v[118:119], v[68:69], s[0:1]
	s_mov_b32 s7, 0xbfc7851a
	v_add_f64 v[74:75], v[8:9], v[44:45]
	s_mov_b32 s8, 0x7faef3
	v_mul_f64 v[116:117], v[72:73], s[6:7]
	s_mov_b32 s9, 0xbfef7484
	s_mov_b32 s18, 0x923c349f
	;; [unrolled: 1-line block ×3, first 2 shown]
	v_fma_f64 v[76:77], v[70:71], s[22:23], -v[118:119]
	s_mov_b32 s24, 0x6c9a05f6
	s_mov_b32 s19, 0xbfeec746
	;; [unrolled: 1-line block ×3, first 2 shown]
	v_fma_f64 v[78:79], v[74:75], s[8:9], -v[116:117]
	s_mov_b32 s25, 0xbfe9895b
	v_mul_f64 v[124:125], v[68:69], s[18:19]
	v_mul_f64 v[130:131], v[68:69], s[24:25]
	v_add_f64 v[76:77], v[0:1], v[76:77]
	s_mov_b32 s26, 0xc61f0d01
	s_mov_b32 s20, 0x910ea3b9
	;; [unrolled: 1-line block ×7, first 2 shown]
	v_add_f64 v[88:89], v[78:79], v[76:77]
	v_mul_f64 v[76:77], v[68:69], s[14:15]
	s_mov_b32 s16, s14
	s_mov_b32 s35, 0xbfe348c8
	;; [unrolled: 1-line block ×5, first 2 shown]
	v_fma_f64 v[86:87], v[70:71], s[26:27], -v[124:125]
	v_mul_f64 v[126:127], v[72:73], s[16:17]
	v_fma_f64 v[78:79], v[70:71], s[34:35], -v[130:131]
	v_mul_f64 v[128:129], v[72:73], s[28:29]
	v_fma_f64 v[90:91], v[70:71], s[20:21], v[76:77]
	v_mul_f64 v[92:93], v[72:73], s[30:31]
	s_mov_b32 s38, 0x2b2883cd
	s_mov_b32 s39, 0x3fdc86fa
	v_add_f64 v[86:87], v[0:1], v[86:87]
	v_fma_f64 v[94:95], v[74:75], s[20:21], -v[126:127]
	v_add_f64 v[78:79], v[0:1], v[78:79]
	v_fma_f64 v[96:97], v[74:75], s[26:27], -v[128:129]
	v_mul_f64 v[98:99], v[68:69], s[6:7]
	v_add_f64 v[90:91], v[0:1], v[90:91]
	v_fma_f64 v[100:101], v[74:75], s[38:39], v[92:93]
	v_fma_f64 v[76:77], v[70:71], s[20:21], -v[76:77]
	s_mov_b32 s36, 0x5d8e7cdc
	v_add_f64 v[86:87], v[94:95], v[86:87]
	s_mov_b32 s37, 0x3fd71e95
	v_add_f64 v[94:95], v[96:97], v[78:79]
	v_fma_f64 v[78:79], v[70:71], s[8:9], v[98:99]
	v_mul_f64 v[96:97], v[72:73], s[36:37]
	v_add_f64 v[90:91], v[100:101], v[90:91]
	v_add_f64 v[100:101], v[0:1], v[76:77]
	v_add_f64 v[76:77], v[34:35], -v[18:19]
	v_fma_f64 v[92:93], v[74:75], s[38:39], -v[92:93]
	s_mov_b32 s44, 0x370991
	s_mov_b32 s42, 0x2a9d6da3
	v_add_f64 v[102:103], v[0:1], v[78:79]
	v_add_f64 v[78:79], v[16:17], v[32:33]
	s_mov_b32 s45, 0x3fedd6d0
	s_mov_b32 s43, 0x3fe58eea
	v_mul_f64 v[132:133], v[76:77], s[28:29]
	v_fma_f64 v[104:105], v[74:75], s[44:45], v[96:97]
	v_fma_f64 v[98:99], v[70:71], s[8:9], -v[98:99]
	v_add_f64 v[92:93], v[92:93], v[100:101]
	v_mul_f64 v[134:135], v[76:77], s[42:43]
	s_mov_b32 s48, 0x75d4884
	s_mov_b32 s41, 0xbfd71e95
	;; [unrolled: 1-line block ×3, first 2 shown]
	v_fma_f64 v[100:101], v[78:79], s[26:27], -v[132:133]
	s_mov_b32 s49, 0x3fe7a5f6
	v_mul_f64 v[138:139], v[76:77], s[40:41]
	v_mul_f64 v[106:107], v[76:77], s[0:1]
	v_add_f64 v[98:99], v[0:1], v[98:99]
	v_fma_f64 v[96:97], v[74:75], s[44:45], -v[96:97]
	v_fma_f64 v[108:109], v[78:79], s[48:49], -v[134:135]
	v_add_f64 v[104:105], v[104:105], v[102:103]
	v_mul_f64 v[102:103], v[76:77], s[14:15]
	v_add_f64 v[88:89], v[100:101], v[88:89]
	v_add_f64 v[100:101], v[38:39], -v[26:27]
	v_fma_f64 v[110:111], v[78:79], s[44:45], -v[138:139]
	v_fma_f64 v[112:113], v[78:79], s[22:23], v[106:107]
	v_add_f64 v[96:97], v[96:97], v[98:99]
	v_add_f64 v[86:87], v[108:109], v[86:87]
	v_fma_f64 v[98:99], v[78:79], s[22:23], -v[106:107]
	v_fma_f64 v[106:107], v[78:79], s[20:21], v[102:103]
	v_fma_f64 v[108:109], v[78:79], s[20:21], -v[102:103]
	v_add_f64 v[102:103], v[24:25], v[36:37]
	v_mul_f64 v[136:137], v[100:101], s[36:37]
	s_mov_b32 s51, 0xbfeca52d
	s_mov_b32 s50, s30
	;; [unrolled: 1-line block ×4, first 2 shown]
	v_add_f64 v[94:95], v[110:111], v[94:95]
	v_add_f64 v[90:91], v[112:113], v[90:91]
	v_mul_f64 v[142:143], v[100:101], s[50:51]
	v_mul_f64 v[110:111], v[100:101], s[46:47]
	v_fma_f64 v[112:113], v[102:103], s[44:45], -v[136:137]
	v_add_f64 v[92:93], v[98:99], v[92:93]
	v_add_f64 v[98:99], v[106:107], v[104:105]
	v_add_f64 v[104:105], v[6:7], -v[30:31]
	v_mul_f64 v[144:145], v[100:101], s[14:15]
	v_add_f64 v[96:97], v[108:109], v[96:97]
	v_fma_f64 v[108:109], v[102:103], s[38:39], -v[142:143]
	v_fma_f64 v[120:121], v[102:103], s[34:35], v[110:111]
	v_add_f64 v[88:89], v[112:113], v[88:89]
	v_mul_f64 v[112:113], v[100:101], s[42:43]
	v_add_f64 v[106:107], v[28:29], v[4:5]
	v_mul_f64 v[148:149], v[104:105], s[6:7]
	s_mov_b32 s53, 0x3fefdd0d
	s_mov_b32 s52, s0
	v_fma_f64 v[114:115], v[102:103], s[20:21], -v[144:145]
	v_mul_f64 v[140:141], v[104:105], s[50:51]
	v_add_f64 v[86:87], v[108:109], v[86:87]
	v_add_f64 v[90:91], v[120:121], v[90:91]
	v_fma_f64 v[108:109], v[102:103], s[34:35], -v[110:111]
	v_fma_f64 v[110:111], v[102:103], s[48:49], v[112:113]
	v_fma_f64 v[112:113], v[102:103], s[48:49], -v[112:113]
	v_fma_f64 v[120:121], v[106:107], s[8:9], -v[148:149]
	v_mul_f64 v[150:151], v[104:105], s[52:53]
	v_add_f64 v[94:95], v[114:115], v[94:95]
	v_fma_f64 v[114:115], v[106:107], s[38:39], -v[140:141]
	v_mul_f64 v[122:123], v[104:105], s[40:41]
	v_add_f64 v[92:93], v[108:109], v[92:93]
	v_add_f64 v[108:109], v[66:67], -v[42:43]
	v_add_f64 v[96:97], v[112:113], v[96:97]
	v_add_f64 v[86:87], v[120:121], v[86:87]
	v_fma_f64 v[112:113], v[106:107], s[22:23], -v[150:151]
	v_mul_f64 v[120:121], v[104:105], s[24:25]
	s_mov_b32 s57, 0xbfe58eea
	s_mov_b32 s56, s42
	v_add_f64 v[98:99], v[110:111], v[98:99]
	v_add_f64 v[88:89], v[114:115], v[88:89]
	v_fma_f64 v[114:115], v[106:107], s[44:45], v[122:123]
	v_add_f64 v[110:111], v[40:41], v[64:65]
	v_mul_f64 v[146:147], v[108:109], s[14:15]
	v_mul_f64 v[158:159], v[108:109], s[56:57]
	v_fma_f64 v[122:123], v[106:107], s[44:45], -v[122:123]
	v_add_f64 v[94:95], v[112:113], v[94:95]
	v_fma_f64 v[112:113], v[106:107], s[34:35], v[120:121]
	v_mul_f64 v[154:155], v[108:109], s[52:53]
	v_add_f64 v[90:91], v[114:115], v[90:91]
	v_fma_f64 v[114:115], v[106:107], s[34:35], -v[120:121]
	v_fma_f64 v[120:121], v[110:111], s[20:21], -v[146:147]
	;; [unrolled: 1-line block ×3, first 2 shown]
	v_add_f64 v[92:93], v[122:123], v[92:93]
	v_mul_f64 v[122:123], v[108:109], s[6:7]
	v_add_f64 v[98:99], v[112:113], v[98:99]
	v_add_f64 v[112:113], v[62:63], -v[50:51]
	v_fma_f64 v[152:153], v[110:111], s[22:23], -v[154:155]
	v_add_f64 v[96:97], v[114:115], v[96:97]
	v_add_f64 v[88:89], v[120:121], v[88:89]
	;; [unrolled: 1-line block ×3, first 2 shown]
	v_mul_f64 v[120:121], v[108:109], s[30:31]
	v_fma_f64 v[156:157], v[110:111], s[8:9], v[122:123]
	v_add_f64 v[114:115], v[48:49], v[60:61]
	v_mul_f64 v[162:163], v[112:113], s[6:7]
	v_mul_f64 v[164:165], v[112:113], s[42:43]
	v_add_f64 v[86:87], v[152:153], v[86:87]
	v_mul_f64 v[152:153], v[112:113], s[46:47]
	v_fma_f64 v[122:123], v[110:111], s[8:9], -v[122:123]
	v_mul_f64 v[160:161], v[112:113], s[40:41]
	v_fma_f64 v[166:167], v[110:111], s[38:39], v[120:121]
	v_add_f64 v[90:91], v[156:157], v[90:91]
	v_fma_f64 v[120:121], v[110:111], s[38:39], -v[120:121]
	v_fma_f64 v[168:169], v[114:115], s[8:9], -v[162:163]
	v_fma_f64 v[170:171], v[114:115], s[48:49], v[164:165]
	v_fma_f64 v[156:157], v[114:115], s[34:35], -v[152:153]
	v_add_f64 v[92:93], v[122:123], v[92:93]
	v_fma_f64 v[122:123], v[114:115], s[44:45], -v[160:161]
	v_add_f64 v[98:99], v[166:167], v[98:99]
	v_mul_f64 v[166:167], v[112:113], s[18:19]
	v_add_f64 v[96:97], v[120:121], v[96:97]
	v_add_f64 v[120:121], v[58:59], -v[54:55]
	v_add_f64 v[94:95], v[168:169], v[94:95]
	v_add_f64 v[168:169], v[170:171], v[90:91]
	v_fma_f64 v[90:91], v[114:115], s[48:49], -v[164:165]
	v_add_f64 v[88:89], v[156:157], v[88:89]
	v_add_f64 v[86:87], v[122:123], v[86:87]
	v_fma_f64 v[170:171], v[114:115], s[26:27], v[166:167]
	v_fma_f64 v[172:173], v[114:115], s[26:27], -v[166:167]
	v_add_f64 v[122:123], v[52:53], v[56:57]
	v_mul_f64 v[156:157], v[120:121], s[42:43]
	v_mul_f64 v[164:165], v[120:121], s[24:25]
	;; [unrolled: 1-line block ×4, first 2 shown]
	v_add_f64 v[176:177], v[90:91], v[92:93]
	v_mul_f64 v[90:91], v[120:121], s[52:53]
	v_add_f64 v[98:99], v[170:171], v[98:99]
	v_add_f64 v[96:97], v[172:173], v[96:97]
	v_fma_f64 v[92:93], v[122:123], s[48:49], -v[156:157]
	v_fma_f64 v[170:171], v[122:123], s[34:35], -v[164:165]
	;; [unrolled: 1-line block ×3, first 2 shown]
	v_fma_f64 v[178:179], v[122:123], s[26:27], v[174:175]
	v_fma_f64 v[174:175], v[122:123], s[26:27], -v[174:175]
	v_fma_f64 v[180:181], v[122:123], s[22:23], v[90:91]
	v_fma_f64 v[182:183], v[122:123], s[22:23], -v[90:91]
	s_movk_i32 s2, 0x5b
	v_add_f64 v[88:89], v[92:93], v[88:89]
	v_add_f64 v[90:91], v[170:171], v[86:87]
	;; [unrolled: 1-line block ×7, first 2 shown]
	v_cmp_gt_u32_e64 s[2:3], s2, v85
	s_and_saveexec_b64 s[54:55], s[2:3]
	s_cbranch_execz .LBB0_15
; %bb.14:
	v_mul_f64 v[170:171], v[70:71], s[34:35]
	v_mul_f64 v[172:173], v[70:71], s[26:27]
	;; [unrolled: 1-line block ×8, first 2 shown]
	v_add_f64 v[130:131], v[130:131], v[170:171]
	v_add_f64 v[124:125], v[124:125], v[172:173]
	;; [unrolled: 1-line block ×3, first 2 shown]
	v_mul_f64 v[186:187], v[102:103], s[20:21]
	v_add_f64 v[126:127], v[126:127], v[176:177]
	v_add_f64 v[138:139], v[138:139], v[184:185]
	;; [unrolled: 1-line block ×3, first 2 shown]
	v_mul_f64 v[172:173], v[102:103], s[38:39]
	v_add_f64 v[130:131], v[0:1], v[130:131]
	v_add_f64 v[124:125], v[0:1], v[124:125]
	v_mul_f64 v[176:177], v[106:107], s[22:23]
	v_add_f64 v[144:145], v[144:145], v[186:187]
	v_add_f64 v[116:117], v[116:117], v[174:175]
	v_mul_f64 v[180:181], v[78:79], s[26:27]
	v_add_f64 v[118:119], v[0:1], v[118:119]
	v_mul_f64 v[190:191], v[106:107], s[8:9]
	v_add_f64 v[128:129], v[128:129], v[130:131]
	v_add_f64 v[130:131], v[134:135], v[182:183]
	;; [unrolled: 1-line block ×3, first 2 shown]
	v_mul_f64 v[126:127], v[110:111], s[48:49]
	v_add_f64 v[150:151], v[150:151], v[176:177]
	v_mul_f64 v[170:171], v[102:103], s[44:45]
	v_add_f64 v[116:117], v[116:117], v[118:119]
	;; [unrolled: 2-line block ×3, first 2 shown]
	v_add_f64 v[138:139], v[142:143], v[172:173]
	v_add_f64 v[124:125], v[130:131], v[124:125]
	v_mul_f64 v[142:143], v[114:115], s[8:9]
	v_add_f64 v[132:133], v[132:133], v[180:181]
	v_add_f64 v[126:127], v[158:159], v[126:127]
	v_mul_f64 v[188:189], v[106:107], s[38:39]
	v_mul_f64 v[130:131], v[114:115], s[44:45]
	v_add_f64 v[118:119], v[144:145], v[128:129]
	v_add_f64 v[128:129], v[148:149], v[190:191]
	;; [unrolled: 1-line block ×7, first 2 shown]
	v_mul_f64 v[148:149], v[70:71], s[38:39]
	v_add_f64 v[118:119], v[150:151], v[118:119]
	v_mul_f64 v[144:145], v[122:123], s[34:35]
	v_add_f64 v[124:125], v[128:129], v[124:125]
	;; [unrolled: 2-line block ×3, first 2 shown]
	v_add_f64 v[116:117], v[136:137], v[116:117]
	v_mul_f64 v[178:179], v[110:111], s[20:21]
	v_mul_f64 v[134:135], v[114:115], s[34:35]
	v_add_f64 v[118:119], v[126:127], v[118:119]
	v_add_f64 v[126:127], v[160:161], v[130:131]
	;; [unrolled: 1-line block ×4, first 2 shown]
	v_mul_f64 v[130:131], v[74:75], s[34:35]
	v_fma_f64 v[132:133], v[68:69], s[30:31], v[148:149]
	v_add_f64 v[116:117], v[140:141], v[116:117]
	v_add_f64 v[140:141], v[164:165], v[144:145]
	;; [unrolled: 1-line block ×5, first 2 shown]
	v_mul_f64 v[126:127], v[78:79], s[8:9]
	v_fma_f64 v[142:143], v[72:73], s[46:47], v[130:131]
	v_add_f64 v[132:133], v[0:1], v[132:133]
	v_fma_f64 v[130:131], v[72:73], s[24:25], v[130:131]
	s_mov_b32 s59, 0x3fc7851a
	v_add_f64 v[118:119], v[128:129], v[118:119]
	v_fma_f64 v[128:129], v[68:69], s[50:51], v[148:149]
	v_add_f64 v[124:125], v[140:141], v[124:125]
	v_fma_f64 v[140:141], v[76:77], s[6:7], v[126:127]
	s_mov_b32 s58, s6
	v_add_f64 v[132:133], v[142:143], v[132:133]
	v_add_f64 v[142:143], v[20:21], v[0:1]
	;; [unrolled: 1-line block ×5, first 2 shown]
	v_mul_f64 v[136:137], v[102:103], s[26:27]
	v_fma_f64 v[126:127], v[76:77], s[58:59], v[126:127]
	v_mul_f64 v[146:147], v[70:71], s[48:49]
	v_add_f64 v[132:133], v[140:141], v[132:133]
	v_add_f64 v[140:141], v[44:45], v[142:143]
	v_mul_f64 v[142:143], v[110:111], s[44:45]
	v_add_f64 v[116:117], v[134:135], v[116:117]
	v_add_f64 v[128:129], v[130:131], v[128:129]
	v_mul_f64 v[134:135], v[106:107], s[48:49]
	v_fma_f64 v[144:145], v[100:101], s[18:19], v[136:137]
	v_fma_f64 v[136:137], v[100:101], s[28:29], v[136:137]
	;; [unrolled: 1-line block ×3, first 2 shown]
	v_add_f64 v[140:141], v[32:33], v[140:141]
	v_fma_f64 v[152:153], v[108:109], s[36:37], v[142:143]
	v_fma_f64 v[142:143], v[108:109], s[40:41], v[142:143]
	v_add_f64 v[126:127], v[126:127], v[128:129]
	v_fma_f64 v[148:149], v[104:105], s[56:57], v[134:135]
	v_add_f64 v[132:133], v[144:145], v[132:133]
	v_mul_f64 v[144:145], v[74:75], s[22:23]
	v_fma_f64 v[134:135], v[104:105], s[42:43], v[134:135]
	v_add_f64 v[140:141], v[36:37], v[140:141]
	v_mul_f64 v[128:129], v[114:115], s[22:23]
	v_add_f64 v[150:151], v[0:1], v[150:151]
	v_add_f64 v[126:127], v[136:137], v[126:127]
	v_mul_f64 v[136:137], v[78:79], s[34:35]
	v_add_f64 v[132:133], v[148:149], v[132:133]
	v_fma_f64 v[148:149], v[72:73], s[52:53], v[144:145]
	v_mul_f64 v[70:71], v[70:71], s[44:45]
	v_add_f64 v[140:141], v[4:5], v[140:141]
	v_fma_f64 v[154:155], v[112:113], s[52:53], v[128:129]
	v_fma_f64 v[128:129], v[112:113], s[0:1], v[128:129]
	v_add_f64 v[126:127], v[134:135], v[126:127]
	v_mul_f64 v[134:135], v[102:103], s[8:9]
	v_add_f64 v[132:133], v[152:153], v[132:133]
	v_fma_f64 v[152:153], v[76:77], s[46:47], v[136:137]
	v_add_f64 v[148:149], v[148:149], v[150:151]
	v_add_f64 v[140:141], v[64:65], v[140:141]
	v_mul_f64 v[74:75], v[74:75], s[48:49]
	v_fma_f64 v[162:163], v[68:69], s[40:41], v[70:71]
	v_add_f64 v[126:127], v[142:143], v[126:127]
	v_mul_f64 v[142:143], v[106:107], s[20:21]
	v_add_f64 v[132:133], v[154:155], v[132:133]
	v_fma_f64 v[154:155], v[100:101], s[58:59], v[134:135]
	v_add_f64 v[148:149], v[152:153], v[148:149]
	v_fma_f64 v[146:147], v[68:69], s[56:57], v[146:147]
	v_mul_f64 v[78:79], v[78:79], s[38:39]
	v_fma_f64 v[68:69], v[68:69], s[36:37], v[70:71]
	v_add_f64 v[126:127], v[128:129], v[126:127]
	v_add_f64 v[128:129], v[60:61], v[140:141]
	v_fma_f64 v[140:141], v[104:105], s[14:15], v[142:143]
	v_fma_f64 v[70:71], v[72:73], s[56:57], v[74:75]
	v_add_f64 v[148:149], v[154:155], v[148:149]
	v_fma_f64 v[144:145], v[72:73], s[0:1], v[144:145]
	v_add_f64 v[146:147], v[0:1], v[146:147]
	v_mul_f64 v[102:103], v[102:103], s[22:23]
	v_fma_f64 v[72:73], v[72:73], s[42:43], v[74:75]
	v_add_f64 v[128:129], v[56:57], v[128:129]
	v_fma_f64 v[136:137], v[76:77], s[24:25], v[136:137]
	v_mul_f64 v[138:139], v[122:123], s[48:49]
	v_add_f64 v[140:141], v[140:141], v[148:149]
	v_add_f64 v[148:149], v[0:1], v[162:163]
	;; [unrolled: 1-line block ×3, first 2 shown]
	v_fma_f64 v[68:69], v[76:77], s[50:51], v[78:79]
	v_mul_f64 v[106:107], v[106:107], s[26:27]
	v_add_f64 v[128:129], v[52:53], v[128:129]
	v_fma_f64 v[76:77], v[76:77], s[30:31], v[78:79]
	v_fma_f64 v[134:135], v[100:101], s[6:7], v[134:135]
	v_add_f64 v[138:139], v[156:157], v[138:139]
	v_add_f64 v[70:71], v[70:71], v[148:149]
	;; [unrolled: 1-line block ×3, first 2 shown]
	v_fma_f64 v[72:73], v[100:101], s[0:1], v[102:103]
	v_mul_f64 v[156:157], v[110:111], s[26:27]
	v_add_f64 v[74:75], v[48:49], v[128:129]
	v_add_f64 v[128:129], v[144:145], v[146:147]
	v_mul_f64 v[110:111], v[110:111], s[34:35]
	v_fma_f64 v[100:101], v[100:101], s[52:53], v[102:103]
	v_add_f64 v[68:69], v[68:69], v[70:71]
	v_add_f64 v[0:1], v[76:77], v[0:1]
	v_fma_f64 v[76:77], v[104:105], s[18:19], v[106:107]
	v_fma_f64 v[78:79], v[104:105], s[16:17], v[142:143]
	v_add_f64 v[70:71], v[40:41], v[74:75]
	v_add_f64 v[74:75], v[136:137], v[128:129]
	v_mul_f64 v[102:103], v[114:115], s[20:21]
	v_fma_f64 v[104:105], v[104:105], s[28:29], v[106:107]
	v_add_f64 v[68:69], v[72:73], v[68:69]
	v_add_f64 v[0:1], v[100:101], v[0:1]
	v_fma_f64 v[100:101], v[108:109], s[24:25], v[110:111]
	v_mul_f64 v[152:153], v[114:115], s[38:39]
	v_add_f64 v[70:71], v[28:29], v[70:71]
	v_add_f64 v[72:73], v[134:135], v[74:75]
	v_fma_f64 v[74:75], v[108:109], s[28:29], v[156:157]
	v_fma_f64 v[160:161], v[108:109], s[18:19], v[156:157]
	v_add_f64 v[68:69], v[76:77], v[68:69]
	v_fma_f64 v[106:107], v[108:109], s[46:47], v[110:111]
	v_add_f64 v[0:1], v[104:105], v[0:1]
	;; [unrolled: 2-line block ×3, first 2 shown]
	v_add_f64 v[72:73], v[78:79], v[72:73]
	v_mul_f64 v[78:79], v[122:123], s[8:9]
	v_mul_f64 v[130:131], v[122:123], s[20:21]
	v_add_f64 v[68:69], v[100:101], v[68:69]
	v_mul_f64 v[154:155], v[122:123], s[44:45]
	v_fma_f64 v[76:77], v[112:113], s[30:31], v[152:153]
	v_fma_f64 v[158:159], v[112:113], s[50:51], v[152:153]
	v_add_f64 v[70:71], v[16:17], v[70:71]
	v_add_f64 v[72:73], v[74:75], v[72:73]
	;; [unrolled: 1-line block ×3, first 2 shown]
	v_fma_f64 v[102:103], v[112:113], s[16:17], v[102:103]
	v_add_f64 v[0:1], v[106:107], v[0:1]
	v_fma_f64 v[106:107], v[120:121], s[6:7], v[78:79]
	v_add_f64 v[68:69], v[104:105], v[68:69]
	;; [unrolled: 2-line block ×3, first 2 shown]
	v_fma_f64 v[130:131], v[120:121], s[14:15], v[130:131]
	v_fma_f64 v[100:101], v[120:121], s[36:37], v[154:155]
	v_add_f64 v[72:73], v[76:77], v[72:73]
	v_fma_f64 v[76:77], v[120:121], s[40:41], v[154:155]
	v_add_f64 v[74:75], v[158:159], v[74:75]
	v_fma_f64 v[78:79], v[120:121], s[58:59], v[78:79]
	v_add_f64 v[0:1], v[102:103], v[0:1]
	v_add_f64 v[68:69], v[106:107], v[68:69]
	v_add_f64 v[70:71], v[12:13], v[70:71]
	;; [unrolled: 1-line block ×5, first 2 shown]
	s_movk_i32 s0, 0x88
	v_add_f64 v[104:105], v[150:151], v[132:133]
	v_add_f64 v[74:75], v[76:77], v[74:75]
	v_mad_u32_u24 v76, v85, s0, 0
	v_add_f64 v[0:1], v[78:79], v[0:1]
	ds_write2_b64 v76, v[70:71], v[68:69] offset1:1
	ds_write2_b64 v76, v[72:73], v[102:103] offset0:2 offset1:3
	ds_write2_b64 v76, v[100:101], v[124:125] offset0:4 offset1:5
	;; [unrolled: 1-line block ×7, first 2 shown]
	ds_write_b64 v76, v[0:1] offset:128
.LBB0_15:
	s_or_b64 exec, exec, s[54:55]
	v_lshl_add_u32 v162, v85, 3, 0
	v_add_u32_e32 v0, 0xd00, v162
	s_waitcnt lgkmcnt(0)
	s_barrier
	ds_read2_b64 v[76:79], v0 offset0:26 offset1:247
	v_add_u32_e32 v0, 0x1b00, v162
	ds_read2_b64 v[68:71], v162 offset1:221
	ds_read2_b64 v[72:75], v0 offset0:20 offset1:241
	ds_read_b64 v[100:101], v162 offset:10608
	s_movk_i32 s0, 0x66
	v_cmp_gt_u32_e64 s[0:1], s0, v85
	s_and_saveexec_b64 s[6:7], s[0:1]
	s_cbranch_execz .LBB0_17
; %bb.16:
	v_add_u32_e32 v1, 0x1f00, v162
	ds_read2_b64 v[92:95], v1 offset0:11 offset1:232
	v_add_u32_e32 v1, 0x1100, v162
	v_add_u32_e32 v0, 0x300, v162
	ds_read2_b64 v[96:99], v1 offset0:17 offset1:238
	ds_read2_b64 v[102:105], v0 offset0:23 offset1:244
	ds_read_b64 v[88:89], v162 offset:11560
	s_waitcnt lgkmcnt(3)
	v_mov_b32_e32 v90, v94
	v_mov_b32_e32 v91, v95
	s_waitcnt lgkmcnt(2)
	v_mov_b32_e32 v94, v98
	v_mov_b32_e32 v95, v99
	;; [unrolled: 3-line block ×3, first 2 shown]
	v_mov_b32_e32 v99, v105
	v_mov_b32_e32 v87, v103
.LBB0_17:
	s_or_b64 exec, exec, s[6:7]
	v_add_f64 v[110:111], v[20:21], -v[12:13]
	s_mov_b32 s42, 0x923c349f
	s_mov_b32 s43, 0xbfeec746
	v_add_f64 v[0:1], v[14:15], v[22:23]
	s_mov_b32 s14, 0xeb564b22
	s_mov_b32 s16, 0x4363dd80
	;; [unrolled: 1-line block ×4, first 2 shown]
	v_mul_f64 v[104:105], v[110:111], s[42:43]
	s_mov_b32 s17, 0xbfe0d888
	s_mov_b32 s23, 0xbfd183b1
	v_mul_f64 v[102:103], v[110:111], s[14:15]
	v_mul_f64 v[106:107], v[110:111], s[24:25]
	;; [unrolled: 1-line block ×3, first 2 shown]
	v_add_f64 v[140:141], v[44:45], -v[8:9]
	s_mov_b32 s6, 0x3259b75e
	v_fma_f64 v[108:109], v[0:1], s[22:23], v[104:105]
	s_mov_b32 s28, 0x6ed5f1bb
	s_mov_b32 s8, 0x910ea3b9
	;; [unrolled: 1-line block ×9, first 2 shown]
	v_fma_f64 v[20:21], v[0:1], s[6:7], v[102:103]
	v_fma_f64 v[112:113], v[0:1], s[28:29], v[106:107]
	v_fma_f64 v[114:115], v[0:1], s[8:9], -v[12:13]
	v_add_f64 v[116:117], v[2:3], v[108:109]
	v_fma_f64 v[12:13], v[0:1], s[8:9], v[12:13]
	v_mul_f64 v[120:121], v[110:111], s[20:21]
	v_add_f64 v[8:9], v[10:11], v[46:47]
	v_mul_f64 v[44:45], v[140:141], s[20:21]
	v_mul_f64 v[108:109], v[140:141], s[40:41]
	;; [unrolled: 1-line block ×3, first 2 shown]
	s_mov_b32 s18, 0x7faef3
	s_mov_b32 s34, 0x2b2883cd
	;; [unrolled: 1-line block ×6, first 2 shown]
	v_add_f64 v[20:21], v[2:3], v[20:21]
	v_add_f64 v[118:119], v[2:3], v[112:113]
	;; [unrolled: 1-line block ×3, first 2 shown]
	v_mul_f64 v[112:113], v[140:141], s[38:39]
	v_fma_f64 v[124:125], v[0:1], s[18:19], -v[120:121]
	v_fma_f64 v[126:127], v[8:9], s[18:19], v[44:45]
	v_fma_f64 v[128:129], v[8:9], s[8:9], v[108:109]
	v_fma_f64 v[132:133], v[8:9], s[34:35], -v[122:123]
	v_add_f64 v[12:13], v[2:3], v[12:13]
	v_fma_f64 v[122:123], v[8:9], s[34:35], v[122:123]
	v_add_f64 v[152:153], v[32:33], -v[16:17]
	v_mul_f64 v[16:17], v[140:141], s[36:37]
	s_mov_b32 s26, 0x370991
	s_mov_b32 s46, 0x2a9d6da3
	;; [unrolled: 1-line block ×6, first 2 shown]
	v_fma_f64 v[120:121], v[0:1], s[18:19], v[120:121]
	v_fma_f64 v[130:131], v[8:9], s[22:23], v[112:113]
	v_add_f64 v[124:125], v[2:3], v[124:125]
	v_add_f64 v[20:21], v[126:127], v[20:21]
	;; [unrolled: 1-line block ×6, first 2 shown]
	v_mul_f64 v[116:117], v[152:153], s[38:39]
	v_mul_f64 v[134:135], v[152:153], s[46:47]
	v_mul_f64 v[144:145], v[152:153], s[44:45]
	v_mul_f64 v[32:33], v[152:153], s[14:15]
	v_fma_f64 v[122:123], v[8:9], s[26:27], -v[16:17]
	v_add_f64 v[160:161], v[36:37], -v[24:25]
	v_add_f64 v[120:121], v[2:3], v[120:121]
	v_add_f64 v[118:119], v[130:131], v[118:119]
	v_fma_f64 v[16:17], v[8:9], s[26:27], v[16:17]
	v_fma_f64 v[130:131], v[114:115], s[22:23], v[116:117]
	;; [unrolled: 1-line block ×4, first 2 shown]
	v_fma_f64 v[138:139], v[114:115], s[6:7], -v[32:33]
	v_add_f64 v[122:123], v[122:123], v[124:125]
	v_mul_f64 v[124:125], v[152:153], s[16:17]
	v_add_f64 v[158:159], v[26:27], v[38:39]
	v_mul_f64 v[156:157], v[160:161], s[36:37]
	s_mov_b32 s53, 0xbfeca52d
	s_mov_b32 s52, s30
	;; [unrolled: 1-line block ×4, first 2 shown]
	v_add_f64 v[16:17], v[16:17], v[120:121]
	v_add_f64 v[20:21], v[130:131], v[20:21]
	;; [unrolled: 1-line block ×5, first 2 shown]
	v_fma_f64 v[32:33], v[114:115], s[6:7], v[32:33]
	v_fma_f64 v[128:129], v[114:115], s[8:9], -v[124:125]
	v_fma_f64 v[124:125], v[114:115], s[8:9], v[124:125]
	v_mul_f64 v[118:119], v[160:161], s[52:53]
	v_mul_f64 v[120:121], v[160:161], s[16:17]
	v_mul_f64 v[130:131], v[160:161], s[56:57]
	v_fma_f64 v[132:133], v[158:159], s[26:27], v[156:157]
	v_add_f64 v[146:147], v[4:5], -v[28:29]
	v_add_f64 v[12:13], v[32:33], v[12:13]
	v_add_f64 v[32:33], v[128:129], v[122:123]
	;; [unrolled: 1-line block ×3, first 2 shown]
	v_fma_f64 v[28:29], v[158:159], s[34:35], v[118:119]
	v_fma_f64 v[124:125], v[158:159], s[8:9], v[120:121]
	v_fma_f64 v[128:129], v[158:159], s[28:29], -v[130:131]
	v_add_f64 v[20:21], v[132:133], v[20:21]
	v_mul_f64 v[136:137], v[160:161], s[46:47]
	v_add_f64 v[132:133], v[30:31], v[6:7]
	v_mul_f64 v[122:123], v[146:147], s[52:53]
	v_mul_f64 v[4:5], v[146:147], s[20:21]
	s_mov_b32 s51, 0x3fefdd0d
	s_mov_b32 s50, s14
	v_add_f64 v[24:25], v[28:29], v[24:25]
	v_add_f64 v[28:29], v[124:125], v[36:37]
	v_add_f64 v[36:37], v[128:129], v[126:127]
	v_fma_f64 v[124:125], v[158:159], s[28:29], v[130:131]
	v_fma_f64 v[126:127], v[158:159], s[48:49], -v[136:137]
	v_fma_f64 v[130:131], v[158:159], s[48:49], v[136:137]
	v_fma_f64 v[136:137], v[132:133], s[34:35], v[122:123]
	;; [unrolled: 1-line block ×3, first 2 shown]
	v_mul_f64 v[128:129], v[146:147], s[50:51]
	v_mul_f64 v[150:151], v[146:147], s[44:45]
	v_add_f64 v[148:149], v[64:65], -v[40:41]
	v_add_f64 v[12:13], v[124:125], v[12:13]
	v_add_f64 v[32:33], v[126:127], v[32:33]
	;; [unrolled: 1-line block ×5, first 2 shown]
	v_fma_f64 v[126:127], v[132:133], s[6:7], v[128:129]
	v_mul_f64 v[136:137], v[146:147], s[24:25]
	v_mul_f64 v[40:41], v[148:149], s[50:51]
	v_fma_f64 v[138:139], v[132:133], s[26:27], v[150:151]
	s_mov_b32 s55, 0xbfe58eea
	s_mov_b32 s54, s46
	v_add_f64 v[16:17], v[130:131], v[16:17]
	v_fma_f64 v[130:131], v[132:133], s[26:27], -v[150:151]
	v_mul_f64 v[64:65], v[148:149], s[16:17]
	v_mul_f64 v[124:125], v[148:149], s[54:55]
	v_add_f64 v[28:29], v[126:127], v[28:29]
	v_fma_f64 v[126:127], v[132:133], s[28:29], -v[136:137]
	v_fma_f64 v[154:155], v[142:143], s[6:7], v[40:41]
	v_add_f64 v[12:13], v[138:139], v[12:13]
	v_mul_f64 v[138:139], v[148:149], s[20:21]
	v_add_f64 v[150:151], v[60:61], -v[48:49]
	v_add_f64 v[36:37], v[130:131], v[36:37]
	v_fma_f64 v[130:131], v[132:133], s[28:29], v[136:137]
	v_fma_f64 v[136:137], v[142:143], s[8:9], v[64:65]
	;; [unrolled: 1-line block ×3, first 2 shown]
	v_add_f64 v[32:33], v[126:127], v[32:33]
	v_add_f64 v[24:25], v[154:155], v[24:25]
	v_mul_f64 v[48:49], v[148:149], s[30:31]
	v_fma_f64 v[154:155], v[142:143], s[18:19], -v[138:139]
	v_add_f64 v[60:61], v[50:51], v[62:63]
	v_mul_f64 v[126:127], v[150:151], s[56:57]
	v_add_f64 v[16:17], v[130:131], v[16:17]
	v_add_f64 v[20:21], v[136:137], v[20:21]
	v_add_f64 v[28:29], v[163:164], v[28:29]
	v_fma_f64 v[138:139], v[142:143], s[18:19], v[138:139]
	v_mul_f64 v[130:131], v[150:151], s[44:45]
	v_mul_f64 v[136:137], v[150:151], s[20:21]
	;; [unrolled: 1-line block ×3, first 2 shown]
	v_fma_f64 v[165:166], v[142:143], s[34:35], -v[48:49]
	v_add_f64 v[36:37], v[154:155], v[36:37]
	v_fma_f64 v[154:155], v[60:61], s[28:29], v[126:127]
	v_fma_f64 v[48:49], v[142:143], s[34:35], v[48:49]
	v_add_f64 v[12:13], v[138:139], v[12:13]
	v_fma_f64 v[138:139], v[60:61], s[26:27], v[130:131]
	v_fma_f64 v[167:168], v[60:61], s[18:19], v[136:137]
	v_fma_f64 v[169:170], v[60:61], s[48:49], -v[163:164]
	v_add_f64 v[32:33], v[165:166], v[32:33]
	v_mul_f64 v[165:166], v[150:151], s[42:43]
	v_add_f64 v[20:21], v[154:155], v[20:21]
	v_add_f64 v[154:155], v[56:57], -v[52:53]
	v_fma_f64 v[163:164], v[60:61], s[48:49], v[163:164]
	v_add_f64 v[16:17], v[48:49], v[16:17]
	v_add_f64 v[24:25], v[138:139], v[24:25]
	;; [unrolled: 1-line block ×4, first 2 shown]
	v_fma_f64 v[167:168], v[60:61], s[22:23], -v[165:166]
	v_fma_f64 v[165:166], v[60:61], s[22:23], v[165:166]
	v_add_f64 v[48:49], v[54:55], v[58:59]
	v_mul_f64 v[138:139], v[154:155], s[46:47]
	v_mul_f64 v[56:57], v[154:155], s[24:25]
	;; [unrolled: 1-line block ×4, first 2 shown]
	v_add_f64 v[163:164], v[163:164], v[12:13]
	v_mul_f64 v[12:13], v[154:155], s[50:51]
	v_add_f64 v[32:33], v[167:168], v[32:33]
	v_add_f64 v[165:166], v[165:166], v[16:17]
	v_fma_f64 v[16:17], v[48:49], s[48:49], v[138:139]
	v_fma_f64 v[167:168], v[48:49], s[28:29], v[56:57]
	;; [unrolled: 1-line block ×3, first 2 shown]
	v_fma_f64 v[173:174], v[48:49], s[22:23], -v[169:170]
	v_fma_f64 v[169:170], v[48:49], s[22:23], v[169:170]
	v_fma_f64 v[175:176], v[48:49], s[6:7], -v[12:13]
	v_fma_f64 v[177:178], v[48:49], s[6:7], v[12:13]
	s_waitcnt lgkmcnt(0)
	v_add_f64 v[12:13], v[16:17], v[20:21]
	v_add_f64 v[16:17], v[167:168], v[24:25]
	;; [unrolled: 1-line block ×7, first 2 shown]
	s_barrier
	s_and_saveexec_b64 s[50:51], s[2:3]
	s_cbranch_execz .LBB0_19
; %bb.18:
	v_add_f64 v[22:23], v[22:23], v[2:3]
	v_mul_f64 v[205:206], v[110:111], s[44:45]
	v_mul_f64 v[163:164], v[0:1], s[6:7]
	;; [unrolled: 1-line block ×7, first 2 shown]
	v_add_f64 v[22:23], v[46:47], v[22:23]
	v_mul_f64 v[46:47], v[114:115], s[48:49]
	v_mul_f64 v[207:208], v[110:111], s[54:55]
	;; [unrolled: 1-line block ×5, first 2 shown]
	v_fma_f64 v[219:220], v[0:1], s[26:27], -v[205:206]
	v_fma_f64 v[205:206], v[0:1], s[26:27], v[205:206]
	v_add_f64 v[22:23], v[34:35], v[22:23]
	s_mov_b32 s3, 0x3fc7851a
	s_mov_b32 s2, s20
	v_mul_f64 v[169:170], v[8:9], s[18:19]
	v_mul_f64 v[175:176], v[114:115], s[22:23]
	;; [unrolled: 1-line block ×5, first 2 shown]
	v_add_f64 v[22:23], v[38:39], v[22:23]
	v_mul_f64 v[211:212], v[152:153], s[52:53]
	v_mul_f64 v[213:214], v[152:153], s[24:25]
	;; [unrolled: 1-line block ×3, first 2 shown]
	v_fma_f64 v[221:222], v[0:1], s[48:49], -v[207:208]
	v_add_f64 v[102:103], v[163:164], -v[102:103]
	v_add_f64 v[104:105], v[165:166], -v[104:105]
	;; [unrolled: 1-line block ×3, first 2 shown]
	v_add_f64 v[6:7], v[6:7], v[22:23]
	v_mul_f64 v[22:23], v[140:141], s[14:15]
	v_mul_f64 v[140:141], v[140:141], s[24:25]
	v_add_f64 v[108:109], v[171:172], -v[108:109]
	v_add_f64 v[46:47], v[46:47], -v[134:135]
	v_fma_f64 v[134:135], v[158:159], s[6:7], -v[215:216]
	v_add_f64 v[44:45], v[169:170], -v[44:45]
	v_fma_f64 v[167:168], v[114:115], s[28:29], -v[213:214]
	v_add_f64 v[6:7], v[66:67], v[6:7]
	v_mul_f64 v[66:67], v[160:161], s[20:21]
	v_mul_f64 v[160:161], v[160:161], s[38:39]
	v_fma_f64 v[163:164], v[8:9], s[6:7], -v[22:23]
	v_fma_f64 v[22:23], v[8:9], s[6:7], v[22:23]
	v_fma_f64 v[165:166], v[8:9], s[28:29], -v[140:141]
	v_fma_f64 v[169:170], v[114:115], s[28:29], v[213:214]
	v_add_f64 v[116:117], v[175:176], -v[116:117]
	v_add_f64 v[6:7], v[62:63], v[6:7]
	v_fma_f64 v[62:63], v[0:1], s[48:49], v[207:208]
	v_fma_f64 v[207:208], v[0:1], s[34:35], -v[110:111]
	v_fma_f64 v[0:1], v[0:1], s[34:35], v[110:111]
	v_fma_f64 v[171:172], v[158:159], s[18:19], -v[66:67]
	;; [unrolled: 2-line block ×3, first 2 shown]
	v_add_f64 v[175:176], v[2:3], v[221:222]
	v_add_f64 v[6:7], v[58:59], v[6:7]
	v_fma_f64 v[58:59], v[8:9], s[48:49], v[209:210]
	v_fma_f64 v[8:9], v[8:9], s[28:29], v[140:141]
	;; [unrolled: 1-line block ×3, first 2 shown]
	v_add_f64 v[62:63], v[2:3], v[62:63]
	v_add_f64 v[0:1], v[2:3], v[0:1]
	;; [unrolled: 1-line block ×5, first 2 shown]
	v_add_f64 v[54:55], v[173:174], -v[112:113]
	v_fma_f64 v[173:174], v[158:159], s[22:23], -v[160:161]
	v_fma_f64 v[112:113], v[114:115], s[34:35], -v[211:212]
	v_add_f64 v[22:23], v[22:23], v[62:63]
	v_add_f64 v[0:1], v[8:9], v[0:1]
	;; [unrolled: 1-line block ×5, first 2 shown]
	v_add_f64 v[50:51], v[177:178], -v[144:145]
	v_fma_f64 v[144:145], v[158:159], s[6:7], v[215:216]
	v_fma_f64 v[158:159], v[158:159], s[22:23], v[160:161]
	v_add_f64 v[160:161], v[2:3], v[205:206]
	v_add_f64 v[22:23], v[169:170], v[22:23]
	;; [unrolled: 1-line block ×3, first 2 shown]
	v_mul_f64 v[185:186], v[132:133], s[34:35]
	v_add_f64 v[6:7], v[42:43], v[6:7]
	v_add_f64 v[42:43], v[179:180], -v[156:157]
	v_fma_f64 v[156:157], v[114:115], s[18:19], -v[152:153]
	v_fma_f64 v[114:115], v[114:115], s[18:19], v[152:153]
	v_add_f64 v[152:153], v[2:3], v[219:220]
	v_add_f64 v[58:59], v[58:59], v[160:161]
	v_mul_f64 v[187:188], v[132:133], s[18:19]
	v_mul_f64 v[217:218], v[146:147], s[42:43]
	v_add_f64 v[6:7], v[30:31], v[6:7]
	v_add_f64 v[30:31], v[2:3], v[207:208]
	v_add_f64 v[2:3], v[2:3], v[106:107]
	v_add_f64 v[22:23], v[66:67], v[22:23]
	v_add_f64 v[106:107], v[110:111], v[152:153]
	v_add_f64 v[8:9], v[42:43], v[8:9]
	v_add_f64 v[0:1], v[114:115], v[0:1]
	v_mul_f64 v[34:35], v[132:133], s[6:7]
	v_add_f64 v[6:7], v[26:27], v[6:7]
	v_add_f64 v[26:27], v[163:164], v[175:176]
	v_add_f64 v[30:31], v[165:166], v[30:31]
	v_add_f64 v[2:3], v[54:55], v[2:3]
	v_add_f64 v[54:55], v[140:141], v[58:59]
	v_fma_f64 v[62:63], v[132:133], s[22:23], v[217:218]
	v_add_f64 v[4:5], v[187:188], -v[4:5]
	v_add_f64 v[0:1], v[158:159], v[0:1]
	v_add_f64 v[6:7], v[18:19], v[6:7]
	;; [unrolled: 1-line block ×5, first 2 shown]
	v_add_f64 v[50:51], v[183:184], -v[120:121]
	v_add_f64 v[18:19], v[112:113], v[106:107]
	v_add_f64 v[34:35], v[34:35], -v[128:129]
	v_mul_f64 v[189:190], v[142:143], s[8:9]
	v_add_f64 v[6:7], v[10:11], v[6:7]
	v_add_f64 v[10:11], v[46:47], v[44:45]
	;; [unrolled: 1-line block ×3, first 2 shown]
	v_add_f64 v[46:47], v[181:182], -v[118:119]
	v_mul_f64 v[54:55], v[146:147], s[46:47]
	v_add_f64 v[26:27], v[171:172], v[26:27]
	v_add_f64 v[30:31], v[173:174], v[30:31]
	v_add_f64 v[2:3], v[50:51], v[2:3]
	v_add_f64 v[6:7], v[14:15], v[6:7]
	v_mul_f64 v[14:15], v[146:147], s[40:41]
	v_add_f64 v[18:19], v[134:135], v[18:19]
	v_add_f64 v[10:11], v[46:47], v[10:11]
	v_fma_f64 v[46:47], v[132:133], s[48:49], -v[54:55]
	v_fma_f64 v[50:51], v[132:133], s[48:49], v[54:55]
	v_mul_f64 v[54:55], v[148:149], s[44:45]
	v_fma_f64 v[58:59], v[132:133], s[22:23], -v[217:218]
	v_add_f64 v[44:45], v[62:63], v[44:45]
	v_fma_f64 v[42:43], v[132:133], s[8:9], -v[14:15]
	v_fma_f64 v[14:15], v[132:133], s[8:9], v[14:15]
	v_add_f64 v[4:5], v[4:5], v[10:11]
	v_add_f64 v[30:31], v[46:47], v[30:31]
	v_mul_f64 v[46:47], v[148:149], s[38:39]
	v_add_f64 v[0:1], v[50:51], v[0:1]
	v_mul_f64 v[191:192], v[142:143], s[6:7]
	v_add_f64 v[2:3], v[34:35], v[2:3]
	v_add_f64 v[26:27], v[42:43], v[26:27]
	v_mul_f64 v[42:43], v[148:149], s[24:25]
	v_add_f64 v[14:15], v[14:15], v[22:23]
	v_add_f64 v[22:23], v[185:186], -v[122:123]
	v_fma_f64 v[10:11], v[142:143], s[22:23], v[46:47]
	v_fma_f64 v[34:35], v[142:143], s[26:27], -v[54:55]
	v_mul_f64 v[193:194], v[142:143], s[48:49]
	v_add_f64 v[18:19], v[58:59], v[18:19]
	v_mul_f64 v[195:196], v[60:61], s[28:29]
	v_fma_f64 v[50:51], v[142:143], s[28:29], -v[42:43]
	v_mul_f64 v[197:198], v[60:61], s[26:27]
	v_add_f64 v[8:9], v[22:23], v[8:9]
	v_fma_f64 v[22:23], v[142:143], s[28:29], v[42:43]
	v_fma_f64 v[42:43], v[142:143], s[22:23], -v[46:47]
	v_add_f64 v[10:11], v[10:11], v[14:15]
	v_add_f64 v[14:15], v[189:190], -v[64:65]
	v_fma_f64 v[46:47], v[142:143], s[26:27], v[54:55]
	v_add_f64 v[30:31], v[34:35], v[30:31]
	v_add_f64 v[34:35], v[191:192], -v[40:41]
	v_add_f64 v[18:19], v[50:51], v[18:19]
	v_add_f64 v[22:23], v[22:23], v[44:45]
	v_mul_f64 v[44:45], v[150:151], s[30:31]
	v_add_f64 v[26:27], v[42:43], v[26:27]
	v_mul_f64 v[42:43], v[150:151], s[16:17]
	v_add_f64 v[40:41], v[193:194], -v[124:125]
	v_add_f64 v[8:9], v[14:15], v[8:9]
	v_mul_f64 v[50:51], v[150:151], s[14:15]
	v_add_f64 v[0:1], v[46:47], v[0:1]
	v_mul_f64 v[199:200], v[60:61], s[18:19]
	v_fma_f64 v[14:15], v[60:61], s[34:35], -v[44:45]
	v_fma_f64 v[44:45], v[60:61], s[34:35], v[44:45]
	v_fma_f64 v[46:47], v[60:61], s[8:9], -v[42:43]
	v_fma_f64 v[42:43], v[60:61], s[8:9], v[42:43]
	v_add_f64 v[4:5], v[34:35], v[4:5]
	v_mul_f64 v[34:35], v[154:155], s[20:21]
	v_add_f64 v[2:3], v[40:41], v[2:3]
	v_fma_f64 v[40:41], v[60:61], s[6:7], v[50:51]
	v_add_f64 v[14:15], v[14:15], v[26:27]
	v_fma_f64 v[26:27], v[60:61], s[6:7], -v[50:51]
	v_mul_f64 v[54:55], v[154:155], s[36:37]
	v_mul_f64 v[58:59], v[154:155], s[16:17]
	;; [unrolled: 1-line block ×4, first 2 shown]
	v_add_f64 v[22:23], v[42:43], v[22:23]
	v_add_f64 v[10:11], v[44:45], v[10:11]
	v_add_f64 v[42:43], v[195:196], -v[126:127]
	v_add_f64 v[44:45], v[197:198], -v[130:131]
	v_mul_f64 v[203:204], v[48:49], s[34:35]
	v_add_f64 v[18:19], v[46:47], v[18:19]
	v_add_f64 v[46:47], v[199:200], -v[136:137]
	v_fma_f64 v[50:51], v[48:49], s[18:19], -v[34:35]
	v_add_f64 v[26:27], v[26:27], v[30:31]
	v_add_f64 v[0:1], v[40:41], v[0:1]
	v_fma_f64 v[30:31], v[48:49], s[26:27], -v[54:55]
	v_fma_f64 v[40:41], v[48:49], s[8:9], -v[58:59]
	v_add_f64 v[8:9], v[42:43], v[8:9]
	v_add_f64 v[4:5], v[44:45], v[4:5]
	v_add_f64 v[38:39], v[38:39], -v[138:139]
	v_add_f64 v[42:43], v[201:202], -v[56:57]
	v_add_f64 v[2:3], v[46:47], v[2:3]
	v_add_f64 v[44:45], v[203:204], -v[52:53]
	v_fma_f64 v[34:35], v[48:49], s[18:19], v[34:35]
	v_fma_f64 v[46:47], v[48:49], s[26:27], v[54:55]
	v_fma_f64 v[48:49], v[48:49], s[8:9], v[58:59]
	v_add_f64 v[18:19], v[50:51], v[18:19]
	v_add_f64 v[14:15], v[30:31], v[14:15]
	;; [unrolled: 1-line block ×8, first 2 shown]
	v_lshl_add_u32 v30, v85, 7, v162
	v_add_f64 v[22:23], v[34:35], v[22:23]
	ds_write2_b64 v30, v[6:7], v[18:19] offset1:1
	ds_write2_b64 v30, v[14:15], v[26:27] offset0:2 offset1:3
	ds_write2_b64 v30, v[8:9], v[4:5] offset0:4 offset1:5
	ds_write2_b64 v30, v[2:3], v[28:29] offset0:6 offset1:7
	ds_write2_b64 v30, v[36:37], v[32:33] offset0:8 offset1:9
	ds_write2_b64 v30, v[24:25], v[20:21] offset0:10 offset1:11
	ds_write2_b64 v30, v[16:17], v[12:13] offset0:12 offset1:13
	ds_write2_b64 v30, v[0:1], v[10:11] offset0:14 offset1:15
	ds_write_b64 v30, v[22:23] offset:128
.LBB0_19:
	s_or_b64 exec, exec, s[50:51]
	v_add_u32_e32 v4, 0xd00, v162
	s_waitcnt lgkmcnt(0)
	s_barrier
	ds_read2_b64 v[8:11], v4 offset0:26 offset1:247
	v_add_u32_e32 v4, 0x1b00, v162
	ds_read2_b64 v[0:3], v162 offset1:221
	ds_read2_b64 v[4:7], v4 offset0:20 offset1:241
	ds_read_b64 v[14:15], v162 offset:10608
	s_and_saveexec_b64 s[2:3], s[0:1]
	s_cbranch_execz .LBB0_21
; %bb.20:
	v_add_u32_e32 v13, 0x1f00, v162
	ds_read2_b64 v[18:21], v13 offset0:11 offset1:232
	v_add_u32_e32 v12, 0x300, v162
	v_add_u32_e32 v13, 0x1100, v162
	ds_read2_b64 v[22:25], v13 offset0:17 offset1:238
	ds_read2_b64 v[28:31], v12 offset0:23 offset1:244
	ds_read_b64 v[12:13], v162 offset:11560
	s_waitcnt lgkmcnt(3)
	v_mov_b32_e32 v16, v20
	v_mov_b32_e32 v17, v21
	;; [unrolled: 1-line block ×3, first 2 shown]
	s_waitcnt lgkmcnt(2)
	v_mov_b32_e32 v33, v23
	s_waitcnt lgkmcnt(1)
	v_mov_b32_e32 v37, v31
	v_mov_b32_e32 v20, v18
	;; [unrolled: 1-line block ×4, first 2 shown]
.LBB0_21:
	s_or_b64 exec, exec, s[2:3]
	s_movk_i32 s2, 0xf1
	v_mul_lo_u16_sdwa v18, v85, s2 dst_sel:DWORD dst_unused:UNUSED_PAD src0_sel:BYTE_0 src1_sel:DWORD
	v_lshrrev_b16_e32 v18, 12, v18
	v_mul_lo_u16_e32 v19, 17, v18
	v_sub_u16_e32 v19, v85, v19
	v_mov_b32_e32 v22, 6
	v_mul_u32_u24_sdwa v23, v19, v22 dst_sel:DWORD dst_unused:UNUSED_PAD src0_sel:BYTE_0 src1_sel:DWORD
	v_lshlrev_b32_e32 v23, 4, v23
	global_load_dwordx4 v[38:41], v23, s[12:13] offset:16
	global_load_dwordx4 v[42:45], v23, s[12:13]
	global_load_dwordx4 v[46:49], v23, s[12:13] offset:48
	global_load_dwordx4 v[50:53], v23, s[12:13] offset:32
	;; [unrolled: 1-line block ×4, first 2 shown]
	v_add_u16_e32 v23, 0x77, v85
	v_mul_lo_u16_sdwa v26, v23, s2 dst_sel:DWORD dst_unused:UNUSED_PAD src0_sel:BYTE_0 src1_sel:DWORD
	v_lshrrev_b16_e32 v60, 12, v26
	v_mul_lo_u16_e32 v26, 17, v60
	v_sub_u16_e32 v61, v23, v26
	v_mul_u32_u24_sdwa v22, v61, v22 dst_sel:DWORD dst_unused:UNUSED_PAD src0_sel:BYTE_0 src1_sel:DWORD
	v_lshlrev_b32_e32 v22, 4, v22
	global_load_dwordx4 v[102:105], v22, s[12:13]
	global_load_dwordx4 v[106:109], v22, s[12:13] offset:16
	global_load_dwordx4 v[110:113], v22, s[12:13] offset:32
	;; [unrolled: 1-line block ×5, first 2 shown]
	v_mov_b32_e32 v63, 3
	v_mul_u32_u24_e32 v18, 0x3b8, v18
	v_lshlrev_b32_sdwa v19, v63, v19 dst_sel:DWORD dst_unused:UNUSED_PAD src0_sel:DWORD src1_sel:BYTE_0
	v_add3_u32 v62, 0, v18, v19
	s_mov_b32 s6, 0x37e14327
	s_mov_b32 s2, 0x36b3c0b5
	;; [unrolled: 1-line block ×20, first 2 shown]
	s_waitcnt vmcnt(0) lgkmcnt(0)
	s_barrier
	v_mul_f64 v[30:31], v[8:9], v[40:41]
	v_mul_f64 v[18:19], v[2:3], v[44:45]
	;; [unrolled: 1-line block ×12, first 2 shown]
	v_fma_f64 v[18:19], v[70:71], v[42:43], v[18:19]
	v_fma_f64 v[26:27], v[2:3], v[42:43], -v[22:23]
	v_fma_f64 v[22:23], v[76:77], v[38:39], v[30:31]
	v_fma_f64 v[2:3], v[100:101], v[64:65], v[58:59]
	;; [unrolled: 1-line block ×3, first 2 shown]
	v_fma_f64 v[8:9], v[8:9], v[38:39], -v[34:35]
	v_fma_f64 v[30:31], v[78:79], v[50:51], v[40:41]
	v_fma_f64 v[10:11], v[10:11], v[50:51], -v[44:45]
	v_fma_f64 v[58:59], v[6:7], v[54:55], -v[56:57]
	v_fma_f64 v[54:55], v[72:73], v[46:47], v[126:127]
	v_fma_f64 v[56:57], v[4:5], v[46:47], -v[48:49]
	v_fma_f64 v[14:15], v[14:15], v[64:65], -v[66:67]
	v_add_f64 v[38:39], v[18:19], v[2:3]
	v_add_f64 v[40:41], v[22:23], v[52:53]
	v_mul_f64 v[128:129], v[36:37], v[104:105]
	v_mul_f64 v[104:105], v[98:99], v[104:105]
	v_add_f64 v[42:43], v[8:9], -v[58:59]
	v_add_f64 v[48:49], v[30:31], v[54:55]
	v_add_f64 v[50:51], v[56:57], -v[10:11]
	v_add_f64 v[66:67], v[26:27], -v[14:15]
	v_mul_f64 v[132:133], v[24:25], v[112:113]
	v_add_f64 v[70:71], v[40:41], v[38:39]
	v_mul_f64 v[112:113], v[94:95], v[112:113]
	v_fma_f64 v[34:35], v[36:37], v[102:103], -v[104:105]
	v_mul_f64 v[130:131], v[32:33], v[108:109]
	v_add_f64 v[36:37], v[38:39], -v[48:49]
	v_add_f64 v[74:75], v[50:51], -v[42:43]
	v_add_f64 v[76:77], v[42:43], -v[66:67]
	v_add_f64 v[42:43], v[50:51], v[42:43]
	v_add_f64 v[70:71], v[48:49], v[70:71]
	v_add_f64 v[48:49], v[48:49], -v[40:41]
	v_add_f64 v[50:51], v[66:67], -v[50:51]
	;; [unrolled: 1-line block ×3, first 2 shown]
	v_mul_f64 v[36:37], v[36:37], s[6:7]
	v_mul_f64 v[74:75], v[74:75], s[14:15]
	;; [unrolled: 1-line block ×3, first 2 shown]
	v_add_f64 v[42:43], v[42:43], v[66:67]
	v_add_f64 v[68:69], v[68:69], v[70:71]
	v_mul_f64 v[40:41], v[48:49], s[2:3]
	v_mul_f64 v[108:109], v[96:97], v[108:109]
	;; [unrolled: 1-line block ×3, first 2 shown]
	v_fma_f64 v[48:49], v[48:49], s[2:3], v[36:37]
	v_fma_f64 v[66:67], v[50:51], s[22:23], v[74:75]
	v_fma_f64 v[74:75], v[76:77], s[8:9], -v[74:75]
	v_fma_f64 v[50:51], v[50:51], s[26:27], -v[78:79]
	v_fma_f64 v[70:71], v[70:71], s[16:17], v[68:69]
	v_fma_f64 v[76:77], v[38:39], s[20:21], -v[36:37]
	v_fma_f64 v[40:41], v[38:39], s[18:19], -v[40:41]
	v_mul_f64 v[116:117], v[92:93], v[116:117]
	v_mul_f64 v[44:45], v[16:17], v[120:121]
	;; [unrolled: 1-line block ×5, first 2 shown]
	v_fma_f64 v[38:39], v[24:25], v[110:111], -v[112:113]
	v_fma_f64 v[24:25], v[42:43], s[24:25], v[66:67]
	v_fma_f64 v[66:67], v[42:43], s[24:25], v[74:75]
	v_fma_f64 v[50:51], v[42:43], s[24:25], v[50:51]
	v_add_f64 v[74:75], v[48:49], v[70:71]
	v_add_f64 v[76:77], v[76:77], v[70:71]
	;; [unrolled: 1-line block ×3, first 2 shown]
	v_fma_f64 v[4:5], v[98:99], v[102:103], v[128:129]
	v_fma_f64 v[6:7], v[96:97], v[106:107], v[130:131]
	v_fma_f64 v[32:33], v[32:33], v[106:107], -v[108:109]
	v_fma_f64 v[36:37], v[94:95], v[110:111], v[132:133]
	v_fma_f64 v[40:41], v[92:93], v[114:115], v[134:135]
	v_fma_f64 v[42:43], v[20:21], v[114:115], -v[116:117]
	v_fma_f64 v[44:45], v[90:91], v[118:119], v[44:45]
	v_fma_f64 v[46:47], v[16:17], v[118:119], -v[46:47]
	v_fma_f64 v[48:49], v[88:89], v[122:123], v[64:65]
	v_add_f64 v[16:17], v[24:25], v[74:75]
	v_add_f64 v[20:21], v[50:51], v[76:77]
	v_add_f64 v[64:65], v[70:71], -v[66:67]
	v_add_f64 v[66:67], v[66:67], v[70:71]
	v_add_f64 v[70:71], v[76:77], -v[50:51]
	v_fma_f64 v[50:51], v[12:13], v[122:123], -v[72:73]
	v_add_f64 v[24:25], v[74:75], -v[24:25]
	ds_write2_b64 v62, v[68:69], v[16:17] offset1:17
	ds_write2_b64 v62, v[20:21], v[64:65] offset0:34 offset1:51
	ds_write2_b64 v62, v[66:67], v[70:71] offset0:68 offset1:85
	ds_write_b64 v62, v[24:25] offset:816
	s_and_saveexec_b64 s[28:29], s[0:1]
	s_cbranch_execz .LBB0_23
; %bb.22:
	v_add_f64 v[12:13], v[6:7], v[44:45]
	v_add_f64 v[16:17], v[4:5], v[48:49]
	v_add_f64 v[20:21], v[42:43], -v[38:39]
	v_add_f64 v[24:25], v[32:33], -v[46:47]
	v_add_f64 v[64:65], v[36:37], v[40:41]
	v_add_f64 v[66:67], v[34:35], -v[50:51]
	v_add_f64 v[68:69], v[12:13], v[16:17]
	v_add_f64 v[70:71], v[20:21], -v[24:25]
	v_add_f64 v[72:73], v[16:17], -v[64:65]
	;; [unrolled: 1-line block ×4, first 2 shown]
	v_add_f64 v[24:25], v[20:21], v[24:25]
	v_add_f64 v[20:21], v[66:67], -v[20:21]
	v_add_f64 v[64:65], v[64:65], v[68:69]
	v_add_f64 v[12:13], v[12:13], -v[16:17]
	v_mul_f64 v[16:17], v[70:71], s[14:15]
	v_mul_f64 v[68:69], v[72:73], s[6:7]
	;; [unrolled: 1-line block ×4, first 2 shown]
	v_add_f64 v[24:25], v[24:25], v[66:67]
	v_add_f64 v[72:73], v[86:87], v[64:65]
	v_fma_f64 v[66:67], v[20:21], s[22:23], v[16:17]
	v_fma_f64 v[86:87], v[12:13], s[20:21], -v[68:69]
	v_fma_f64 v[20:21], v[20:21], s[26:27], -v[70:71]
	;; [unrolled: 1-line block ×4, first 2 shown]
	v_fma_f64 v[68:69], v[76:77], s[2:3], v[68:69]
	v_fma_f64 v[64:65], v[64:65], s[16:17], v[72:73]
	;; [unrolled: 1-line block ×5, first 2 shown]
	v_add_f64 v[24:25], v[86:87], v[64:65]
	v_add_f64 v[12:13], v[12:13], v[64:65]
	;; [unrolled: 1-line block ×3, first 2 shown]
	v_add_f64 v[68:69], v[24:25], -v[20:21]
	v_add_f64 v[70:71], v[12:13], -v[16:17]
	v_add_f64 v[74:75], v[66:67], v[64:65]
	v_add_f64 v[20:21], v[20:21], v[24:25]
	;; [unrolled: 1-line block ×3, first 2 shown]
	v_add_f64 v[16:17], v[64:65], -v[66:67]
	v_mul_u32_u24_e32 v24, 0x3b8, v60
	v_lshlrev_b32_sdwa v25, v63, v61 dst_sel:DWORD dst_unused:UNUSED_PAD src0_sel:DWORD src1_sel:BYTE_0
	v_add3_u32 v24, 0, v24, v25
	ds_write2_b64 v24, v[72:73], v[74:75] offset1:17
	ds_write2_b64 v24, v[20:21], v[70:71] offset0:34 offset1:51
	ds_write2_b64 v24, v[12:13], v[68:69] offset0:68 offset1:85
	ds_write_b64 v24, v[16:17] offset:816
.LBB0_23:
	s_or_b64 exec, exec, s[28:29]
	v_add_f64 v[12:13], v[26:27], v[14:15]
	v_add_f64 v[8:9], v[8:9], v[58:59]
	v_add_f64 v[14:15], v[22:23], -v[52:53]
	v_add_f64 v[10:11], v[10:11], v[56:57]
	v_add_f64 v[16:17], v[54:55], -v[30:31]
	v_add_f64 v[2:3], v[18:19], -v[2:3]
	s_waitcnt lgkmcnt(0)
	s_barrier
	v_add_f64 v[18:19], v[8:9], v[12:13]
	v_add_u32_e32 v30, 0x1400, v162
	v_add_f64 v[20:21], v[12:13], -v[10:11]
	v_add_f64 v[22:23], v[16:17], -v[14:15]
	;; [unrolled: 1-line block ×3, first 2 shown]
	v_add_f64 v[14:15], v[16:17], v[14:15]
	v_add_f64 v[16:17], v[2:3], -v[16:17]
	v_add_f64 v[18:19], v[10:11], v[18:19]
	v_add_f64 v[10:11], v[10:11], -v[8:9]
	v_mul_f64 v[20:21], v[20:21], s[6:7]
	v_mul_f64 v[22:23], v[22:23], s[14:15]
	;; [unrolled: 1-line block ×3, first 2 shown]
	v_add_f64 v[52:53], v[0:1], v[18:19]
	v_add_f64 v[0:1], v[8:9], -v[12:13]
	v_mul_f64 v[8:9], v[10:11], s[2:3]
	v_add_f64 v[12:13], v[14:15], v[2:3]
	v_fma_f64 v[10:11], v[10:11], s[2:3], v[20:21]
	v_fma_f64 v[14:15], v[16:17], s[22:23], v[22:23]
	v_fma_f64 v[22:23], v[24:25], s[8:9], -v[22:23]
	v_fma_f64 v[16:17], v[16:17], s[26:27], -v[26:27]
	v_fma_f64 v[18:19], v[18:19], s[16:17], v[52:53]
	v_fma_f64 v[20:21], v[0:1], s[20:21], -v[20:21]
	v_fma_f64 v[8:9], v[0:1], s[18:19], -v[8:9]
	ds_read2_b64 v[0:3], v162 offset1:119
	v_fma_f64 v[24:25], v[12:13], s[24:25], v[14:15]
	v_fma_f64 v[22:23], v[12:13], s[24:25], v[22:23]
	v_fma_f64 v[16:17], v[12:13], s[24:25], v[16:17]
	v_add_f64 v[26:27], v[10:11], v[18:19]
	v_add_f64 v[20:21], v[20:21], v[18:19]
	;; [unrolled: 1-line block ×3, first 2 shown]
	v_add_u32_e32 v8, 0x400, v162
	v_add_u32_e32 v12, 0xc00, v162
	ds_read2_b64 v[8:11], v8 offset0:110 offset1:229
	ds_read2_b64 v[12:15], v12 offset0:92 offset1:211
	v_add_f64 v[54:55], v[26:27], -v[24:25]
	v_add_f64 v[56:57], v[20:21], -v[16:17]
	v_add_f64 v[58:59], v[22:23], v[18:19]
	v_add_f64 v[65:66], v[16:17], v[20:21]
	v_add_u32_e32 v16, 0x1c00, v162
	v_add_f64 v[63:64], v[18:19], -v[22:23]
	ds_read2_b64 v[20:23], v16 offset0:56 offset1:175
	v_add_u32_e32 v16, 0x2400, v162
	v_add_f64 v[67:68], v[24:25], v[26:27]
	ds_read2_b64 v[24:27], v30 offset0:74 offset1:193
	ds_read2_b64 v[16:19], v16 offset0:38 offset1:157
	ds_read_b64 v[30:31], v162 offset:11424
	s_waitcnt lgkmcnt(0)
	s_barrier
	ds_write2_b64 v62, v[52:53], v[54:55] offset1:17
	ds_write2_b64 v62, v[56:57], v[58:59] offset0:34 offset1:51
	ds_write2_b64 v62, v[63:64], v[65:66] offset0:68 offset1:85
	ds_write_b64 v62, v[67:68] offset:816
	s_and_saveexec_b64 s[2:3], s[0:1]
	s_cbranch_execz .LBB0_25
; %bb.24:
	v_add_f64 v[34:35], v[34:35], v[50:51]
	v_add_f64 v[32:33], v[32:33], v[46:47]
	;; [unrolled: 1-line block ×3, first 2 shown]
	v_add_f64 v[36:37], v[40:41], -v[36:37]
	v_add_f64 v[6:7], v[6:7], -v[44:45]
	;; [unrolled: 1-line block ×3, first 2 shown]
	s_mov_b32 s6, 0x36b3c0b5
	s_mov_b32 s0, 0x37e14327
	;; [unrolled: 1-line block ×3, first 2 shown]
	v_add_f64 v[40:41], v[32:33], v[34:35]
	v_add_f64 v[42:43], v[34:35], -v[38:39]
	s_mov_b32 s1, 0x3fe948f6
	v_add_f64 v[44:45], v[36:37], v[6:7]
	v_add_f64 v[46:47], v[36:37], -v[6:7]
	v_add_f64 v[6:7], v[6:7], -v[4:5]
	s_mov_b32 s8, 0xe976ee23
	s_mov_b32 s9, 0x3fe11646
	v_add_f64 v[40:41], v[38:39], v[40:41]
	v_add_f64 v[38:39], v[38:39], -v[32:33]
	v_add_f64 v[32:33], v[32:33], -v[34:35]
	;; [unrolled: 1-line block ×3, first 2 shown]
	s_mov_b32 s14, 0x429ad128
	v_mul_f64 v[42:43], v[42:43], s[0:1]
	s_mov_b32 s15, 0xbfebfeb5
	v_add_f64 v[4:5], v[44:45], v[4:5]
	v_add_f64 v[28:29], v[28:29], v[40:41]
	v_mul_f64 v[36:37], v[38:39], s[6:7]
	v_mul_f64 v[44:45], v[46:47], s[8:9]
	;; [unrolled: 1-line block ×3, first 2 shown]
	s_mov_b32 s1, 0x3fe77f67
	s_mov_b32 s0, 0x5476071b
	v_fma_f64 v[38:39], v[38:39], s[6:7], v[42:43]
	v_fma_f64 v[40:41], v[40:41], s[16:17], v[28:29]
	v_fma_f64 v[36:37], v[32:33], s[0:1], -v[36:37]
	s_mov_b32 s1, 0xbfe77f67
	v_fma_f64 v[32:33], v[32:33], s[0:1], -v[42:43]
	s_mov_b32 s1, 0xbfd5d0dc
	s_mov_b32 s0, 0xb247c609
	v_fma_f64 v[42:43], v[34:35], s[0:1], v[44:45]
	s_mov_b32 s1, 0x3fd5d0dc
	v_fma_f64 v[34:35], v[34:35], s[0:1], -v[46:47]
	v_fma_f64 v[6:7], v[6:7], s[14:15], -v[44:45]
	s_mov_b32 s0, 0x37c3f68c
	s_mov_b32 s1, 0xbfdc38aa
	v_add_f64 v[38:39], v[38:39], v[40:41]
	v_add_f64 v[36:37], v[36:37], v[40:41]
	v_add_f64 v[32:33], v[32:33], v[40:41]
	v_fma_f64 v[40:41], v[4:5], s[0:1], v[42:43]
	v_fma_f64 v[34:35], v[4:5], s[0:1], v[34:35]
	;; [unrolled: 1-line block ×3, first 2 shown]
	v_add_f64 v[6:7], v[38:39], -v[40:41]
	v_add_f64 v[42:43], v[32:33], -v[34:35]
	v_add_f64 v[44:45], v[4:5], v[36:37]
	v_add_f64 v[4:5], v[36:37], -v[4:5]
	v_add_f64 v[32:33], v[34:35], v[32:33]
	v_add_f64 v[34:35], v[40:41], v[38:39]
	v_mov_b32_e32 v37, 3
	v_mul_u32_u24_e32 v36, 0x3b8, v60
	v_lshlrev_b32_sdwa v37, v37, v61 dst_sel:DWORD dst_unused:UNUSED_PAD src0_sel:DWORD src1_sel:BYTE_0
	v_add3_u32 v36, 0, v36, v37
	ds_write2_b64 v36, v[28:29], v[6:7] offset1:17
	ds_write2_b64 v36, v[42:43], v[44:45] offset0:34 offset1:51
	ds_write2_b64 v36, v[4:5], v[32:33] offset0:68 offset1:85
	ds_write_b64 v36, v[34:35] offset:816
.LBB0_25:
	s_or_b64 exec, exec, s[2:3]
	s_waitcnt lgkmcnt(0)
	s_barrier
	s_and_saveexec_b64 s[0:1], vcc
	s_cbranch_execz .LBB0_27
; %bb.26:
	v_mul_u32_u24_e32 v4, 12, v85
	v_lshlrev_b32_e32 v4, 4, v4
	global_load_dwordx4 v[32:35], v4, s[12:13] offset:1712
	global_load_dwordx4 v[36:39], v4, s[12:13] offset:1728
	;; [unrolled: 1-line block ×12, first 2 shown]
	v_mul_lo_u32 v137, s5, v83
	v_mul_lo_u32 v138, s4, v84
	v_mad_u64_u32 v[28:29], s[0:1], s4, v83, 0
	ds_read2_b64 v[4:7], v162 offset1:119
	ds_read_b64 v[83:84], v162 offset:11424
	v_add_u32_e32 v40, 0x1400, v162
	v_add_u32_e32 v41, 0xc00, v162
	;; [unrolled: 1-line block ×5, first 2 shown]
	ds_read2_b64 v[44:47], v40 offset0:74 offset1:193
	ds_read2_b64 v[76:79], v41 offset0:92 offset1:211
	;; [unrolled: 1-line block ×5, first 2 shown]
	s_mov_b32 s20, 0x4bc48dbf
	s_mov_b32 s21, 0xbfcea1e5
	;; [unrolled: 1-line block ×28, first 2 shown]
	v_add3_u32 v29, v29, v138, v137
	s_mov_b32 s31, 0x3fe5384d
	s_mov_b32 s30, s12
	s_mov_b32 s29, 0xbfefc445
	s_mov_b32 s28, s22
	s_waitcnt vmcnt(11)
	v_mul_f64 v[40:41], v[24:25], v[32:33]
	s_waitcnt vmcnt(10)
	v_mul_f64 v[42:43], v[26:27], v[36:37]
	;; [unrolled: 2-line block ×3, first 2 shown]
	v_mul_f64 v[14:15], v[14:15], v[54:55]
	v_mul_f64 v[24:25], v[24:25], v[34:35]
	;; [unrolled: 1-line block ×3, first 2 shown]
	s_waitcnt vmcnt(8)
	v_mul_f64 v[70:71], v[20:21], v[58:59]
	s_waitcnt vmcnt(7)
	v_mul_f64 v[117:118], v[12:13], v[62:63]
	;; [unrolled: 2-line block ×3, first 2 shown]
	v_mul_f64 v[12:13], v[12:13], v[64:65]
	s_waitcnt vmcnt(1)
	v_mul_f64 v[129:130], v[2:3], v[97:98]
	s_waitcnt vmcnt(0)
	v_mul_f64 v[131:132], v[30:31], v[101:102]
	v_mul_f64 v[22:23], v[22:23], v[68:69]
	;; [unrolled: 1-line block ×6, first 2 shown]
	s_waitcnt lgkmcnt(3)
	v_fma_f64 v[54:55], v[78:79], v[54:55], v[56:57]
	v_fma_f64 v[56:57], v[78:79], v[52:53], -v[14:15]
	v_fma_f64 v[78:79], v[6:7], v[99:100], v[129:130]
	v_fma_f64 v[2:3], v[83:84], v[103:104], v[131:132]
	v_mul_f64 v[20:21], v[20:21], v[60:61]
	v_mul_f64 v[121:122], v[10:11], v[72:73]
	;; [unrolled: 1-line block ×6, first 2 shown]
	v_fma_f64 v[48:49], v[44:45], v[34:35], v[40:41]
	v_fma_f64 v[42:43], v[46:47], v[38:39], v[42:43]
	v_fma_f64 v[50:51], v[44:45], v[32:33], -v[24:25]
	v_fma_f64 v[46:47], v[46:47], v[36:37], -v[26:27]
	s_waitcnt lgkmcnt(2)
	v_fma_f64 v[34:35], v[105:106], v[60:61], v[70:71]
	v_fma_f64 v[60:61], v[76:77], v[64:65], v[117:118]
	;; [unrolled: 1-line block ×3, first 2 shown]
	v_fma_f64 v[62:63], v[76:77], v[62:63], -v[12:13]
	v_fma_f64 v[36:37], v[107:108], v[66:67], -v[22:23]
	s_waitcnt lgkmcnt(1)
	v_fma_f64 v[76:77], v[109:110], v[91:92], v[125:126]
	s_waitcnt lgkmcnt(0)
	v_fma_f64 v[24:25], v[115:116], v[95:96], v[127:128]
	v_fma_f64 v[91:92], v[6:7], v[97:98], -v[133:134]
	v_fma_f64 v[22:23], v[83:84], v[101:102], -v[135:136]
	v_add_f64 v[119:120], v[78:79], -v[2:3]
	v_mul_f64 v[10:11], v[10:11], v[74:75]
	v_fma_f64 v[70:71], v[111:112], v[74:75], v[121:122]
	v_fma_f64 v[26:27], v[113:114], v[87:88], v[123:124]
	v_fma_f64 v[38:39], v[113:114], v[85:86], -v[16:17]
	v_fma_f64 v[85:86], v[109:110], v[89:90], -v[8:9]
	;; [unrolled: 1-line block ×3, first 2 shown]
	v_add_f64 v[117:118], v[76:77], -v[24:25]
	v_add_f64 v[68:69], v[91:92], v[22:23]
	v_mul_f64 v[6:7], v[119:120], s[20:21]
	v_fma_f64 v[72:73], v[111:112], v[72:73], -v[10:11]
	v_add_f64 v[115:116], v[70:71], -v[26:27]
	v_add_f64 v[107:108], v[91:92], -v[22:23]
	;; [unrolled: 1-line block ×3, first 2 shown]
	v_add_f64 v[66:67], v[85:86], v[32:33]
	v_mul_f64 v[8:9], v[117:118], s[18:19]
	v_add_f64 v[103:104], v[85:86], -v[32:33]
	v_fma_f64 v[10:11], v[68:69], s[14:15], v[6:7]
	v_add_f64 v[64:65], v[72:73], v[38:39]
	v_mul_f64 v[12:13], v[115:116], s[12:13]
	v_add_f64 v[97:98], v[78:79], v[2:3]
	v_mul_f64 v[16:17], v[107:108], s[20:21]
	v_fma_f64 v[40:41], v[105:106], v[58:59], -v[20:21]
	v_fma_f64 v[14:15], v[66:67], s[16:17], v[8:9]
	v_add_f64 v[58:59], v[62:63], v[36:37]
	v_add_f64 v[10:11], v[4:5], v[10:11]
	v_add_f64 v[101:102], v[72:73], -v[38:39]
	v_mul_f64 v[18:19], v[89:90], s[26:27]
	v_fma_f64 v[20:21], v[64:65], s[8:9], v[12:13]
	v_add_f64 v[95:96], v[76:77], v[24:25]
	v_fma_f64 v[109:110], v[97:98], s[14:15], -v[16:17]
	v_add_f64 v[105:106], v[62:63], -v[36:37]
	v_add_f64 v[93:94], v[70:71], v[26:27]
	v_add_f64 v[10:11], v[14:15], v[10:11]
	v_mul_f64 v[14:15], v[103:104], s[18:19]
	v_fma_f64 v[6:7], v[68:69], s[14:15], -v[6:7]
	v_fma_f64 v[111:112], v[58:59], s[6:7], v[18:19]
	v_add_f64 v[87:88], v[54:55], -v[34:35]
	v_add_f64 v[109:110], v[0:1], v[109:110]
	v_add_f64 v[99:100], v[56:57], -v[40:41]
	v_add_f64 v[83:84], v[60:61], v[30:31]
	v_add_f64 v[10:11], v[20:21], v[10:11]
	v_mul_f64 v[20:21], v[101:102], s[12:13]
	v_fma_f64 v[113:114], v[95:96], s[16:17], -v[14:15]
	v_fma_f64 v[8:9], v[66:67], s[16:17], -v[8:9]
	v_add_f64 v[6:7], v[4:5], v[6:7]
	v_mul_f64 v[127:128], v[105:106], s[26:27]
	v_add_f64 v[74:75], v[48:49], -v[42:43]
	v_add_f64 v[52:53], v[56:57], v[40:41]
	v_add_f64 v[10:11], v[111:112], v[10:11]
	v_fma_f64 v[111:112], v[93:94], s[8:9], -v[20:21]
	v_add_f64 v[129:130], v[113:114], v[109:110]
	v_mul_f64 v[121:122], v[87:88], s[4:5]
	v_fma_f64 v[12:13], v[64:65], s[8:9], -v[12:13]
	v_add_f64 v[6:7], v[8:9], v[6:7]
	v_add_f64 v[113:114], v[50:51], -v[46:47]
	v_add_f64 v[109:110], v[54:55], v[34:35]
	v_fma_f64 v[8:9], v[97:98], s[14:15], v[16:17]
	v_mul_f64 v[16:17], v[99:100], s[4:5]
	v_fma_f64 v[131:132], v[83:84], s[6:7], -v[127:128]
	v_add_f64 v[129:130], v[111:112], v[129:130]
	v_add_f64 v[44:45], v[50:51], v[46:47]
	v_mul_f64 v[123:124], v[74:75], s[22:23]
	v_fma_f64 v[125:126], v[52:53], s[0:1], v[121:122]
	v_fma_f64 v[18:19], v[58:59], s[6:7], -v[18:19]
	v_add_f64 v[6:7], v[12:13], v[6:7]
	v_add_f64 v[111:112], v[48:49], v[42:43]
	v_fma_f64 v[12:13], v[95:96], s[16:17], v[14:15]
	v_add_f64 v[8:9], v[0:1], v[8:9]
	v_mul_f64 v[14:15], v[113:114], s[22:23]
	v_fma_f64 v[133:134], v[109:110], s[0:1], -v[16:17]
	v_add_f64 v[129:130], v[131:132], v[129:130]
	v_fma_f64 v[121:122], v[52:53], s[0:1], -v[121:122]
	v_add_f64 v[6:7], v[18:19], v[6:7]
	v_fma_f64 v[18:19], v[44:45], s[2:3], v[123:124]
	v_fma_f64 v[20:21], v[93:94], s[8:9], v[20:21]
	v_add_f64 v[8:9], v[12:13], v[8:9]
	v_add_f64 v[10:11], v[125:126], v[10:11]
	v_fma_f64 v[12:13], v[111:112], s[2:3], -v[14:15]
	v_add_f64 v[125:126], v[133:134], v[129:130]
	v_mul_f64 v[129:130], v[119:120], s[12:13]
	v_fma_f64 v[123:124], v[44:45], s[2:3], -v[123:124]
	v_add_f64 v[121:122], v[121:122], v[6:7]
	v_fma_f64 v[127:128], v[83:84], s[6:7], v[127:128]
	v_add_f64 v[20:21], v[20:21], v[8:9]
	v_add_f64 v[8:9], v[18:19], v[10:11]
	v_mul_f64 v[10:11], v[117:118], s[22:23]
	v_add_f64 v[6:7], v[12:13], v[125:126]
	v_fma_f64 v[18:19], v[68:69], s[8:9], v[129:130]
	v_mul_f64 v[125:126], v[107:108], s[12:13]
	v_fma_f64 v[129:130], v[68:69], s[8:9], -v[129:130]
	v_add_f64 v[12:13], v[123:124], v[121:122]
	v_fma_f64 v[16:17], v[109:110], s[0:1], v[16:17]
	v_add_f64 v[20:21], v[127:128], v[20:21]
	v_mul_f64 v[121:122], v[115:116], s[24:25]
	v_fma_f64 v[123:124], v[66:67], s[2:3], v[10:11]
	v_add_f64 v[18:19], v[4:5], v[18:19]
	v_mul_f64 v[133:134], v[103:104], s[22:23]
	v_fma_f64 v[135:136], v[97:98], s[8:9], -v[125:126]
	v_fma_f64 v[10:11], v[66:67], s[2:3], -v[10:11]
	v_add_f64 v[129:130], v[4:5], v[129:130]
	v_fma_f64 v[125:126], v[97:98], s[8:9], v[125:126]
	v_mul_f64 v[127:128], v[89:90], s[34:35]
	v_fma_f64 v[14:15], v[111:112], s[2:3], v[14:15]
	v_fma_f64 v[131:132], v[64:65], s[6:7], v[121:122]
	v_add_f64 v[18:19], v[123:124], v[18:19]
	v_add_f64 v[16:17], v[16:17], v[20:21]
	v_mul_f64 v[137:138], v[101:102], s[24:25]
	v_fma_f64 v[139:140], v[95:96], s[2:3], -v[133:134]
	v_add_f64 v[135:136], v[0:1], v[135:136]
	v_fma_f64 v[121:122], v[64:65], s[6:7], -v[121:122]
	v_add_f64 v[10:11], v[10:11], v[129:130]
	v_fma_f64 v[133:134], v[95:96], s[2:3], v[133:134]
	v_add_f64 v[125:126], v[0:1], v[125:126]
	v_mul_f64 v[20:21], v[87:88], s[18:19]
	v_fma_f64 v[123:124], v[58:59], s[14:15], v[127:128]
	v_add_f64 v[18:19], v[131:132], v[18:19]
	v_mul_f64 v[131:132], v[74:75], s[4:5]
	v_mul_f64 v[143:144], v[105:106], s[34:35]
	v_fma_f64 v[145:146], v[93:94], s[6:7], -v[137:138]
	v_add_f64 v[135:136], v[139:140], v[135:136]
	v_fma_f64 v[127:128], v[58:59], s[14:15], -v[127:128]
	v_add_f64 v[121:122], v[121:122], v[10:11]
	v_add_f64 v[10:11], v[14:15], v[16:17]
	v_fma_f64 v[14:15], v[93:94], s[6:7], v[137:138]
	v_add_f64 v[125:126], v[133:134], v[125:126]
	v_fma_f64 v[141:142], v[52:53], s[16:17], v[20:21]
	;; [unrolled: 2-line block ×3, first 2 shown]
	v_mul_f64 v[129:130], v[99:100], s[18:19]
	v_fma_f64 v[139:140], v[83:84], s[14:15], -v[143:144]
	v_add_f64 v[135:136], v[145:146], v[135:136]
	v_fma_f64 v[20:21], v[52:53], s[16:17], -v[20:21]
	v_add_f64 v[121:122], v[127:128], v[121:122]
	v_fma_f64 v[127:128], v[44:45], s[0:1], -v[131:132]
	v_fma_f64 v[131:132], v[83:84], s[14:15], v[143:144]
	v_add_f64 v[14:15], v[14:15], v[125:126]
	v_mul_f64 v[125:126], v[119:120], s[4:5]
	v_add_f64 v[18:19], v[141:142], v[18:19]
	v_fma_f64 v[145:146], v[109:110], s[16:17], -v[129:130]
	v_add_f64 v[135:136], v[139:140], v[135:136]
	v_add_f64 v[20:21], v[20:21], v[121:122]
	v_fma_f64 v[121:122], v[109:110], s[16:17], v[129:130]
	v_mul_f64 v[129:130], v[107:108], s[4:5]
	v_mul_f64 v[133:134], v[117:118], s[30:31]
	v_add_f64 v[14:15], v[131:132], v[14:15]
	v_fma_f64 v[131:132], v[68:69], s[0:1], v[125:126]
	v_fma_f64 v[125:126], v[68:69], s[0:1], -v[125:126]
	v_add_f64 v[16:17], v[123:124], v[18:19]
	v_add_f64 v[123:124], v[145:146], v[135:136]
	v_mul_f64 v[135:136], v[103:104], s[30:31]
	v_fma_f64 v[137:138], v[97:98], s[0:1], -v[129:130]
	v_mul_f64 v[139:140], v[115:116], s[18:19]
	v_fma_f64 v[143:144], v[66:67], s[8:9], v[133:134]
	v_add_f64 v[131:132], v[4:5], v[131:132]
	v_fma_f64 v[133:134], v[66:67], s[8:9], -v[133:134]
	v_add_f64 v[125:126], v[4:5], v[125:126]
	v_mul_f64 v[145:146], v[101:102], s[18:19]
	v_fma_f64 v[147:148], v[95:96], s[8:9], -v[135:136]
	v_add_f64 v[137:138], v[0:1], v[137:138]
	v_mul_f64 v[149:150], v[89:90], s[28:29]
	v_fma_f64 v[151:152], v[64:65], s[16:17], v[139:140]
	v_add_f64 v[131:132], v[143:144], v[131:132]
	v_fma_f64 v[139:140], v[64:65], s[16:17], -v[139:140]
	v_add_f64 v[125:126], v[133:134], v[125:126]
	v_mul_f64 v[143:144], v[105:106], s[28:29]
	v_fma_f64 v[153:154], v[93:94], s[16:17], -v[145:146]
	v_add_f64 v[137:138], v[147:148], v[137:138]
	v_mul_f64 v[147:148], v[87:88], s[34:35]
	v_fma_f64 v[155:156], v[58:59], s[2:3], v[149:150]
	v_add_f64 v[131:132], v[151:152], v[131:132]
	v_fma_f64 v[149:150], v[58:59], s[2:3], -v[149:150]
	v_add_f64 v[125:126], v[139:140], v[125:126]
	v_mul_f64 v[141:142], v[113:114], s[4:5]
	v_mul_f64 v[133:134], v[99:100], s[34:35]
	v_fma_f64 v[151:152], v[83:84], s[2:3], -v[143:144]
	v_add_f64 v[137:138], v[153:154], v[137:138]
	v_mul_f64 v[153:154], v[74:75], s[26:27]
	v_fma_f64 v[157:158], v[52:53], s[14:15], v[147:148]
	v_add_f64 v[131:132], v[155:156], v[131:132]
	v_fma_f64 v[147:148], v[52:53], s[14:15], -v[147:148]
	v_add_f64 v[125:126], v[149:150], v[125:126]
	v_fma_f64 v[18:19], v[111:112], s[0:1], -v[141:142]
	v_mul_f64 v[139:140], v[113:114], s[26:27]
	v_fma_f64 v[155:156], v[109:110], s[14:15], -v[133:134]
	v_add_f64 v[137:138], v[151:152], v[137:138]
	v_fma_f64 v[149:150], v[44:45], s[6:7], v[153:154]
	v_add_f64 v[131:132], v[157:158], v[131:132]
	v_fma_f64 v[153:154], v[44:45], s[6:7], -v[153:154]
	v_fma_f64 v[129:130], v[97:98], s[0:1], v[129:130]
	v_add_f64 v[125:126], v[147:148], v[125:126]
	v_fma_f64 v[141:142], v[111:112], s[0:1], v[141:142]
	v_add_f64 v[121:122], v[121:122], v[14:15]
	v_fma_f64 v[151:152], v[111:112], s[6:7], -v[139:140]
	v_add_f64 v[137:138], v[155:156], v[137:138]
	v_add_f64 v[14:15], v[18:19], v[123:124]
	;; [unrolled: 1-line block ×4, first 2 shown]
	v_fma_f64 v[131:132], v[95:96], s[8:9], v[135:136]
	v_mul_f64 v[135:136], v[119:120], s[28:29]
	v_add_f64 v[129:130], v[0:1], v[129:130]
	v_add_f64 v[127:128], v[153:154], v[125:126]
	v_fma_f64 v[125:126], v[111:112], s[6:7], v[139:140]
	v_mul_f64 v[139:140], v[107:108], s[28:29]
	v_add_f64 v[121:122], v[141:142], v[121:122]
	v_add_f64 v[18:19], v[151:152], v[137:138]
	v_fma_f64 v[137:138], v[83:84], s[2:3], v[143:144]
	v_fma_f64 v[141:142], v[93:94], s[16:17], v[145:146]
	v_mul_f64 v[143:144], v[117:118], s[20:21]
	v_fma_f64 v[145:146], v[68:69], s[2:3], v[135:136]
	v_add_f64 v[129:130], v[131:132], v[129:130]
	v_mul_f64 v[131:132], v[103:104], s[20:21]
	v_fma_f64 v[147:148], v[97:98], s[2:3], -v[139:140]
	s_mov_b32 s27, 0x3fedeba7
	s_mov_b32 s26, s4
	v_fma_f64 v[135:136], v[68:69], s[2:3], -v[135:136]
	v_fma_f64 v[151:152], v[66:67], s[14:15], v[143:144]
	v_add_f64 v[145:146], v[4:5], v[145:146]
	v_add_f64 v[129:130], v[141:142], v[129:130]
	v_mul_f64 v[141:142], v[101:102], s[26:27]
	v_fma_f64 v[153:154], v[95:96], s[14:15], -v[131:132]
	v_add_f64 v[147:148], v[0:1], v[147:148]
	v_mul_f64 v[149:150], v[115:116], s[26:27]
	v_fma_f64 v[143:144], v[66:67], s[14:15], -v[143:144]
	v_add_f64 v[135:136], v[4:5], v[135:136]
	v_add_f64 v[145:146], v[151:152], v[145:146]
	v_fma_f64 v[133:134], v[109:110], s[14:15], v[133:134]
	v_fma_f64 v[151:152], v[93:94], s[0:1], -v[141:142]
	v_mul_f64 v[155:156], v[89:90], s[18:19]
	v_add_f64 v[147:148], v[153:154], v[147:148]
	v_fma_f64 v[157:158], v[64:65], s[0:1], v[149:150]
	v_add_f64 v[129:130], v[137:138], v[129:130]
	v_fma_f64 v[149:150], v[64:65], s[0:1], -v[149:150]
	v_add_f64 v[135:136], v[143:144], v[135:136]
	v_mul_f64 v[137:138], v[105:106], s[18:19]
	v_fma_f64 v[139:140], v[97:98], s[2:3], v[139:140]
	v_fma_f64 v[159:160], v[58:59], s[16:17], v[155:156]
	v_add_f64 v[147:148], v[151:152], v[147:148]
	v_mul_f64 v[151:152], v[74:75], s[12:13]
	v_add_f64 v[129:130], v[133:134], v[129:130]
	v_fma_f64 v[155:156], v[58:59], s[16:17], -v[155:156]
	v_add_f64 v[135:136], v[149:150], v[135:136]
	v_add_f64 v[91:92], v[4:5], v[91:92]
	v_add_f64 v[78:79], v[0:1], v[78:79]
	v_mul_f64 v[153:154], v[87:88], s[24:25]
	v_mul_f64 v[173:174], v[101:102], s[20:21]
	v_fma_f64 v[133:134], v[44:45], s[8:9], v[151:152]
	v_fma_f64 v[149:150], v[44:45], s[8:9], -v[151:152]
	v_mul_f64 v[151:152], v[107:108], s[24:25]
	v_add_f64 v[135:136], v[155:156], v[135:136]
	v_mul_f64 v[155:156], v[103:104], s[4:5]
	v_add_f64 v[145:146], v[157:158], v[145:146]
	v_mul_f64 v[157:158], v[99:100], s[24:25]
	v_fma_f64 v[161:162], v[83:84], s[16:17], -v[137:138]
	v_fma_f64 v[131:132], v[95:96], s[14:15], v[131:132]
	v_add_f64 v[139:140], v[0:1], v[139:140]
	v_fma_f64 v[167:168], v[97:98], s[6:7], -v[151:152]
	v_add_f64 v[85:86], v[85:86], v[91:92]
	v_fma_f64 v[175:176], v[95:96], s[0:1], -v[155:156]
	v_add_f64 v[76:77], v[76:77], v[78:79]
	v_fma_f64 v[163:164], v[52:53], s[6:7], v[153:154]
	v_fma_f64 v[153:154], v[52:53], s[6:7], -v[153:154]
	v_fma_f64 v[179:180], v[93:94], s[14:15], -v[173:174]
	v_add_f64 v[145:146], v[159:160], v[145:146]
	v_add_f64 v[167:168], v[0:1], v[167:168]
	v_mul_f64 v[159:160], v[113:114], s[12:13]
	v_fma_f64 v[165:166], v[109:110], s[6:7], -v[157:158]
	v_add_f64 v[143:144], v[161:162], v[147:148]
	v_fma_f64 v[141:142], v[93:94], s[0:1], v[141:142]
	v_add_f64 v[131:132], v[131:132], v[139:140]
	v_add_f64 v[72:73], v[72:73], v[85:86]
	;; [unrolled: 1-line block ×5, first 2 shown]
	v_mul_f64 v[153:154], v[113:114], s[18:19]
	v_fma_f64 v[147:148], v[111:112], s[8:9], -v[159:160]
	v_mul_f64 v[161:162], v[119:120], s[24:25]
	v_add_f64 v[143:144], v[165:166], v[143:144]
	v_fma_f64 v[137:138], v[83:84], s[16:17], v[137:138]
	v_add_f64 v[131:132], v[141:142], v[131:132]
	v_add_f64 v[167:168], v[179:180], v[167:168]
	v_mul_f64 v[179:180], v[74:75], s[18:19]
	s_mov_b32 s19, 0xbfddbe06
	v_mul_f64 v[119:120], v[119:120], s[18:19]
	v_add_f64 v[62:63], v[62:63], v[72:73]
	v_add_f64 v[60:61], v[60:61], v[70:71]
	;; [unrolled: 1-line block ×3, first 2 shown]
	v_mul_f64 v[163:164], v[117:118], s[4:5]
	v_fma_f64 v[165:166], v[68:69], s[6:7], v[161:162]
	v_fma_f64 v[157:158], v[109:110], s[6:7], v[157:158]
	v_add_f64 v[131:132], v[137:138], v[131:132]
	v_add_f64 v[125:126], v[125:126], v[129:130]
	v_add_f64 v[129:130], v[147:148], v[143:144]
	v_fma_f64 v[143:144], v[68:69], s[6:7], -v[161:162]
	v_fma_f64 v[147:148], v[97:98], s[6:7], v[151:152]
	v_mul_f64 v[117:118], v[117:118], s[24:25]
	v_fma_f64 v[151:152], v[68:69], s[16:17], v[119:120]
	v_mul_f64 v[72:73], v[107:108], s[18:19]
	v_add_f64 v[56:57], v[56:57], v[62:63]
	v_add_f64 v[54:55], v[54:55], v[60:61]
	v_mul_f64 v[169:170], v[115:116], s[20:21]
	v_fma_f64 v[171:172], v[66:67], s[0:1], v[163:164]
	v_add_f64 v[165:166], v[4:5], v[165:166]
	v_fma_f64 v[159:160], v[111:112], s[8:9], v[159:160]
	v_add_f64 v[157:158], v[157:158], v[131:132]
	v_add_f64 v[135:136], v[149:150], v[135:136]
	v_fma_f64 v[149:150], v[66:67], s[0:1], -v[163:164]
	v_add_f64 v[143:144], v[4:5], v[143:144]
	v_fma_f64 v[155:156], v[95:96], s[0:1], v[155:156]
	v_add_f64 v[147:148], v[0:1], v[147:148]
	v_mul_f64 v[115:116], v[115:116], s[28:29]
	v_fma_f64 v[161:162], v[66:67], s[6:7], v[117:118]
	v_add_f64 v[151:152], v[4:5], v[151:152]
	v_mul_f64 v[60:61], v[103:104], s[24:25]
	v_fma_f64 v[62:63], v[97:98], s[16:17], -v[72:73]
	v_fma_f64 v[72:73], v[97:98], s[16:17], v[72:73]
	v_fma_f64 v[68:69], v[68:69], s[16:17], -v[119:120]
	v_add_f64 v[50:51], v[50:51], v[56:57]
	v_add_f64 v[48:49], v[48:49], v[54:55]
	v_mul_f64 v[177:178], v[89:90], s[30:31]
	v_add_f64 v[165:166], v[171:172], v[165:166]
	v_mul_f64 v[171:172], v[105:106], s[30:31]
	v_add_f64 v[131:132], v[133:134], v[145:146]
	v_add_f64 v[133:134], v[159:160], v[157:158]
	v_fma_f64 v[159:160], v[64:65], s[14:15], -v[169:170]
	v_add_f64 v[143:144], v[149:150], v[143:144]
	v_fma_f64 v[149:150], v[93:94], s[14:15], v[173:174]
	v_add_f64 v[147:148], v[155:156], v[147:148]
	v_mul_f64 v[89:90], v[89:90], s[4:5]
	v_fma_f64 v[155:156], v[64:65], s[2:3], v[115:116]
	v_add_f64 v[151:152], v[161:162], v[151:152]
	v_mul_f64 v[101:102], v[101:102], s[28:29]
	v_fma_f64 v[54:55], v[95:96], s[6:7], -v[60:61]
	v_add_f64 v[56:57], v[0:1], v[62:63]
	v_fma_f64 v[60:61], v[95:96], s[6:7], v[60:61]
	v_add_f64 v[0:1], v[0:1], v[72:73]
	v_fma_f64 v[139:140], v[64:65], s[14:15], v[169:170]
	v_fma_f64 v[62:63], v[66:67], s[6:7], -v[117:118]
	v_add_f64 v[4:5], v[4:5], v[68:69]
	v_add_f64 v[46:47], v[46:47], v[50:51]
	;; [unrolled: 1-line block ×3, first 2 shown]
	v_mul_f64 v[141:142], v[87:88], s[22:23]
	v_add_f64 v[143:144], v[159:160], v[143:144]
	v_fma_f64 v[159:160], v[83:84], s[8:9], v[171:172]
	v_add_f64 v[78:79], v[149:150], v[147:148]
	v_mul_f64 v[87:88], v[87:88], s[12:13]
	v_fma_f64 v[91:92], v[58:59], s[0:1], v[89:90]
	v_add_f64 v[147:148], v[155:156], v[151:152]
	v_mul_f64 v[103:104], v[105:106], s[4:5]
	v_fma_f64 v[48:49], v[93:94], s[2:3], -v[101:102]
	v_add_f64 v[50:51], v[54:55], v[56:57]
	v_fma_f64 v[56:57], v[93:94], s[2:3], v[101:102]
	v_add_f64 v[0:1], v[60:61], v[0:1]
	v_fma_f64 v[175:176], v[58:59], s[8:9], v[177:178]
	v_add_f64 v[139:140], v[139:140], v[165:166]
	v_mul_f64 v[165:166], v[99:100], s[22:23]
	v_fma_f64 v[181:182], v[83:84], s[8:9], -v[171:172]
	v_fma_f64 v[54:55], v[64:65], s[2:3], -v[115:116]
	v_add_f64 v[4:5], v[62:63], v[4:5]
	v_add_f64 v[40:41], v[40:41], v[46:47]
	;; [unrolled: 1-line block ×4, first 2 shown]
	v_fma_f64 v[78:79], v[52:53], s[8:9], v[87:88]
	v_add_f64 v[85:86], v[91:92], v[147:148]
	v_mul_f64 v[99:100], v[99:100], s[12:13]
	v_fma_f64 v[42:43], v[83:84], s[0:1], -v[103:104]
	v_add_f64 v[46:47], v[48:49], v[50:51]
	v_fma_f64 v[50:51], v[83:84], s[0:1], v[103:104]
	v_add_f64 v[0:1], v[56:57], v[0:1]
	v_fma_f64 v[137:138], v[52:53], s[2:3], v[141:142]
	v_add_f64 v[139:140], v[175:176], v[139:140]
	v_fma_f64 v[175:176], v[109:110], s[2:3], -v[165:166]
	v_add_f64 v[167:168], v[181:182], v[167:168]
	v_fma_f64 v[48:49], v[58:59], s[0:1], -v[89:90]
	v_add_f64 v[4:5], v[54:55], v[4:5]
	v_add_f64 v[36:37], v[36:37], v[40:41]
	;; [unrolled: 1-line block ×3, first 2 shown]
	v_fma_f64 v[157:158], v[58:59], s[8:9], -v[177:178]
	v_add_f64 v[78:79], v[78:79], v[85:86]
	v_mul_f64 v[85:86], v[113:114], s[20:21]
	v_fma_f64 v[34:35], v[109:110], s[8:9], -v[99:100]
	v_add_f64 v[40:41], v[42:43], v[46:47]
	v_fma_f64 v[46:47], v[109:110], s[8:9], v[99:100]
	v_add_f64 v[0:1], v[50:51], v[0:1]
	v_fma_f64 v[181:182], v[44:45], s[16:17], v[179:180]
	v_add_f64 v[137:138], v[137:138], v[139:140]
	v_fma_f64 v[145:146], v[111:112], s[16:17], -v[153:154]
	v_add_f64 v[167:168], v[175:176], v[167:168]
	v_fma_f64 v[149:150], v[109:110], s[2:3], v[165:166]
	v_mul_f64 v[74:75], v[74:75], s[20:21]
	v_fma_f64 v[42:43], v[52:53], s[8:9], -v[87:88]
	v_add_f64 v[4:5], v[48:49], v[4:5]
	v_add_f64 v[36:37], v[38:39], v[36:37]
	v_add_f64 v[26:27], v[26:27], v[30:31]
	v_fma_f64 v[141:142], v[52:53], s[2:3], -v[141:142]
	v_add_f64 v[143:144], v[157:158], v[143:144]
	v_fma_f64 v[30:31], v[111:112], s[14:15], -v[85:86]
	v_add_f64 v[34:35], v[34:35], v[40:41]
	v_fma_f64 v[40:41], v[111:112], s[14:15], v[85:86]
	v_add_f64 v[0:1], v[46:47], v[0:1]
	v_add_f64 v[139:140], v[181:182], v[137:138]
	;; [unrolled: 1-line block ×3, first 2 shown]
	v_fma_f64 v[145:146], v[44:45], s[16:17], -v[179:180]
	v_add_f64 v[70:71], v[149:150], v[76:77]
	v_fma_f64 v[76:77], v[44:45], s[14:15], v[74:75]
	v_fma_f64 v[38:39], v[44:45], s[14:15], -v[74:75]
	v_add_f64 v[4:5], v[42:43], v[4:5]
	v_add_f64 v[42:43], v[32:33], v[36:37]
	;; [unrolled: 1-line block ×4, first 2 shown]
	v_fma_f64 v[141:142], v[111:112], s[16:17], v[153:154]
	v_add_f64 v[30:31], v[30:31], v[34:35]
	v_add_f64 v[34:35], v[40:41], v[0:1]
	v_lshlrev_b64 v[0:1], 4, v[28:29]
	v_add_f64 v[36:37], v[38:39], v[4:5]
	v_add_f64 v[4:5], v[22:23], v[42:43]
	;; [unrolled: 1-line block ×3, first 2 shown]
	v_mov_b32_e32 v22, s11
	v_add_co_u32_e32 v23, vcc, s10, v0
	v_addc_co_u32_e32 v22, vcc, v22, v1, vcc
	v_lshlrev_b64 v[0:1], 4, v[80:81]
	v_add_f64 v[26:27], v[145:146], v[91:92]
	v_add_f64 v[24:25], v[141:142], v[70:71]
	v_mov_b32_e32 v83, 0
	v_add_co_u32_e32 v23, vcc, v23, v0
	v_addc_co_u32_e32 v22, vcc, v22, v1, vcc
	v_lshlrev_b64 v[0:1], 4, v[82:83]
	s_movk_i32 s0, 0x1000
	v_add_co_u32_e32 v0, vcc, v23, v0
	v_addc_co_u32_e32 v1, vcc, v22, v1, vcc
	global_store_dwordx4 v[0:1], v[2:5], off
	global_store_dwordx4 v[0:1], v[34:37], off offset:1904
	global_store_dwordx4 v[0:1], v[24:27], off offset:3808
	v_add_co_u32_e32 v2, vcc, s0, v0
	v_addc_co_u32_e32 v3, vcc, 0, v1, vcc
	s_movk_i32 s0, 0x2000
	global_store_dwordx4 v[2:3], v[133:136], off offset:1616
	global_store_dwordx4 v[2:3], v[125:128], off offset:3520
	v_add_co_u32_e32 v2, vcc, s0, v0
	v_add_f64 v[32:33], v[76:77], v[78:79]
	v_addc_co_u32_e32 v3, vcc, 0, v1, vcc
	s_movk_i32 s0, 0x3000
	global_store_dwordx4 v[2:3], v[121:124], off offset:1328
	global_store_dwordx4 v[2:3], v[10:13], off offset:3232
	v_add_co_u32_e32 v2, vcc, s0, v0
	v_addc_co_u32_e32 v3, vcc, 0, v1, vcc
	s_movk_i32 s0, 0x4000
	global_store_dwordx4 v[2:3], v[6:9], off offset:1040
	global_store_dwordx4 v[2:3], v[14:17], off offset:2944
	v_add_co_u32_e32 v2, vcc, s0, v0
	v_addc_co_u32_e32 v3, vcc, 0, v1, vcc
	v_add_co_u32_e32 v0, vcc, 0x5000, v0
	v_addc_co_u32_e32 v1, vcc, 0, v1, vcc
	global_store_dwordx4 v[2:3], v[18:21], off offset:752
	global_store_dwordx4 v[2:3], v[129:132], off offset:2656
	;; [unrolled: 1-line block ×4, first 2 shown]
.LBB0_27:
	s_endpgm
	.section	.rodata,"a",@progbits
	.p2align	6, 0x0
	.amdhsa_kernel fft_rtc_back_len1547_factors_17_7_13_wgs_119_tpt_119_halfLds_dp_op_CI_CI_unitstride_sbrr_dirReg
		.amdhsa_group_segment_fixed_size 0
		.amdhsa_private_segment_fixed_size 0
		.amdhsa_kernarg_size 104
		.amdhsa_user_sgpr_count 6
		.amdhsa_user_sgpr_private_segment_buffer 1
		.amdhsa_user_sgpr_dispatch_ptr 0
		.amdhsa_user_sgpr_queue_ptr 0
		.amdhsa_user_sgpr_kernarg_segment_ptr 1
		.amdhsa_user_sgpr_dispatch_id 0
		.amdhsa_user_sgpr_flat_scratch_init 0
		.amdhsa_user_sgpr_private_segment_size 0
		.amdhsa_uses_dynamic_stack 0
		.amdhsa_system_sgpr_private_segment_wavefront_offset 0
		.amdhsa_system_sgpr_workgroup_id_x 1
		.amdhsa_system_sgpr_workgroup_id_y 0
		.amdhsa_system_sgpr_workgroup_id_z 0
		.amdhsa_system_sgpr_workgroup_info 0
		.amdhsa_system_vgpr_workitem_id 0
		.amdhsa_next_free_vgpr 223
		.amdhsa_next_free_sgpr 60
		.amdhsa_reserve_vcc 1
		.amdhsa_reserve_flat_scratch 0
		.amdhsa_float_round_mode_32 0
		.amdhsa_float_round_mode_16_64 0
		.amdhsa_float_denorm_mode_32 3
		.amdhsa_float_denorm_mode_16_64 3
		.amdhsa_dx10_clamp 1
		.amdhsa_ieee_mode 1
		.amdhsa_fp16_overflow 0
		.amdhsa_exception_fp_ieee_invalid_op 0
		.amdhsa_exception_fp_denorm_src 0
		.amdhsa_exception_fp_ieee_div_zero 0
		.amdhsa_exception_fp_ieee_overflow 0
		.amdhsa_exception_fp_ieee_underflow 0
		.amdhsa_exception_fp_ieee_inexact 0
		.amdhsa_exception_int_div_zero 0
	.end_amdhsa_kernel
	.text
.Lfunc_end0:
	.size	fft_rtc_back_len1547_factors_17_7_13_wgs_119_tpt_119_halfLds_dp_op_CI_CI_unitstride_sbrr_dirReg, .Lfunc_end0-fft_rtc_back_len1547_factors_17_7_13_wgs_119_tpt_119_halfLds_dp_op_CI_CI_unitstride_sbrr_dirReg
                                        ; -- End function
	.section	.AMDGPU.csdata,"",@progbits
; Kernel info:
; codeLenInByte = 15684
; NumSgprs: 64
; NumVgprs: 223
; ScratchSize: 0
; MemoryBound: 1
; FloatMode: 240
; IeeeMode: 1
; LDSByteSize: 0 bytes/workgroup (compile time only)
; SGPRBlocks: 7
; VGPRBlocks: 55
; NumSGPRsForWavesPerEU: 64
; NumVGPRsForWavesPerEU: 223
; Occupancy: 1
; WaveLimiterHint : 1
; COMPUTE_PGM_RSRC2:SCRATCH_EN: 0
; COMPUTE_PGM_RSRC2:USER_SGPR: 6
; COMPUTE_PGM_RSRC2:TRAP_HANDLER: 0
; COMPUTE_PGM_RSRC2:TGID_X_EN: 1
; COMPUTE_PGM_RSRC2:TGID_Y_EN: 0
; COMPUTE_PGM_RSRC2:TGID_Z_EN: 0
; COMPUTE_PGM_RSRC2:TIDIG_COMP_CNT: 0
	.type	__hip_cuid_496059378d6686a6,@object ; @__hip_cuid_496059378d6686a6
	.section	.bss,"aw",@nobits
	.globl	__hip_cuid_496059378d6686a6
__hip_cuid_496059378d6686a6:
	.byte	0                               ; 0x0
	.size	__hip_cuid_496059378d6686a6, 1

	.ident	"AMD clang version 19.0.0git (https://github.com/RadeonOpenCompute/llvm-project roc-6.4.0 25133 c7fe45cf4b819c5991fe208aaa96edf142730f1d)"
	.section	".note.GNU-stack","",@progbits
	.addrsig
	.addrsig_sym __hip_cuid_496059378d6686a6
	.amdgpu_metadata
---
amdhsa.kernels:
  - .args:
      - .actual_access:  read_only
        .address_space:  global
        .offset:         0
        .size:           8
        .value_kind:     global_buffer
      - .offset:         8
        .size:           8
        .value_kind:     by_value
      - .actual_access:  read_only
        .address_space:  global
        .offset:         16
        .size:           8
        .value_kind:     global_buffer
      - .actual_access:  read_only
        .address_space:  global
        .offset:         24
        .size:           8
        .value_kind:     global_buffer
      - .actual_access:  read_only
        .address_space:  global
        .offset:         32
        .size:           8
        .value_kind:     global_buffer
      - .offset:         40
        .size:           8
        .value_kind:     by_value
      - .actual_access:  read_only
        .address_space:  global
        .offset:         48
        .size:           8
        .value_kind:     global_buffer
      - .actual_access:  read_only
        .address_space:  global
        .offset:         56
        .size:           8
        .value_kind:     global_buffer
      - .offset:         64
        .size:           4
        .value_kind:     by_value
      - .actual_access:  read_only
        .address_space:  global
        .offset:         72
        .size:           8
        .value_kind:     global_buffer
      - .actual_access:  read_only
        .address_space:  global
        .offset:         80
        .size:           8
        .value_kind:     global_buffer
      - .actual_access:  read_only
        .address_space:  global
        .offset:         88
        .size:           8
        .value_kind:     global_buffer
      - .actual_access:  write_only
        .address_space:  global
        .offset:         96
        .size:           8
        .value_kind:     global_buffer
    .group_segment_fixed_size: 0
    .kernarg_segment_align: 8
    .kernarg_segment_size: 104
    .language:       OpenCL C
    .language_version:
      - 2
      - 0
    .max_flat_workgroup_size: 119
    .name:           fft_rtc_back_len1547_factors_17_7_13_wgs_119_tpt_119_halfLds_dp_op_CI_CI_unitstride_sbrr_dirReg
    .private_segment_fixed_size: 0
    .sgpr_count:     64
    .sgpr_spill_count: 0
    .symbol:         fft_rtc_back_len1547_factors_17_7_13_wgs_119_tpt_119_halfLds_dp_op_CI_CI_unitstride_sbrr_dirReg.kd
    .uniform_work_group_size: 1
    .uses_dynamic_stack: false
    .vgpr_count:     223
    .vgpr_spill_count: 0
    .wavefront_size: 64
amdhsa.target:   amdgcn-amd-amdhsa--gfx906
amdhsa.version:
  - 1
  - 2
...

	.end_amdgpu_metadata
